;; amdgpu-corpus repo=ROCm/aiter kind=harvested arch=n/a opt=n/a

/root/src/amdgpu-assembly/repos/ROCm__aiter/hsa/gfx950/pa/pa_bf16_pertokenFp8_gqa8_1tg_4w_mtp_msk1.co:	file format elf64-amdgpu

Disassembly of section .text:

0000000000002200 <_ZN5aiter40pa_bf16_pertokenFp8_gqa8_1tg_4w_mtp_msk1E>:
	s_and_b32 s1, s1, 0xffff                                   // 000000002200: 8601FF01 0000FFFF
	s_load_dwordx2 s[8:9], s[0:1], 0x0                         // 000000002208: C0060200 00000000
	s_load_dwordx2 s[12:13], s[0:1], 0x10                      // 000000002210: C0060300 00000010
	s_load_dwordx2 s[16:17], s[0:1], 0x20                      // 000000002218: C0060400 00000020
	s_load_dwordx2 s[20:21], s[0:1], 0x30                      // 000000002220: C0060500 00000030
	s_load_dwordx2 s[24:25], s[0:1], 0x40                      // 000000002228: C0060600 00000040
	s_load_dwordx2 s[28:29], s[0:1], 0x50                      // 000000002230: C0060700 00000050
	s_load_dwordx2 s[32:33], s[0:1], 0x60                      // 000000002238: C0060800 00000060
	s_load_dwordx2 s[36:37], s[0:1], 0x70                      // 000000002240: C0060900 00000070
	s_load_dword s64, s[0:1], 0x80                             // 000000002248: C0021000 00000080
	s_load_dword s65, s[0:1], 0x90                             // 000000002250: C0021040 00000090
	s_load_dword s66, s[0:1], 0xa0                             // 000000002258: C0021080 000000A0
	s_load_dword s74, s[0:1], 0xb0                             // 000000002260: C0021280 000000B0
	s_load_dword s68, s[0:1], 0xc0                             // 000000002268: C0021100 000000C0
	s_load_dword s69, s[0:1], 0xd0                             // 000000002270: C0021140 000000D0
	s_load_dword s77, s[0:1], 0xe0                             // 000000002278: C0021340 000000E0
	s_load_dwordx2 s[80:81], s[0:1], 0xf0                      // 000000002280: C0061400 000000F0
	v_lshrrev_b32_e32 v1, 10, v0                               // 000000002288: 2002008A
	v_lshrrev_b32_e32 v2, 10, v1                               // 00000000228C: 2004028A
	v_and_b32_e32 v2, 0x3ff, v2                                // 000000002290: 260404FF 000003FF
	v_and_b32_e32 v1, 0x3ff, v1                                // 000000002298: 260202FF 000003FF
	v_and_b32_e32 v0, 0x3ff, v0                                // 0000000022A0: 260000FF 000003FF
	v_lshrrev_b32_e32 v3, 6, v0                                // 0000000022A8: 20060086
	v_and_b32_e32 v0, 63, v0                                   // 0000000022AC: 260000BF
	s_mov_b32 s2, s2                                           // 0000000022B0: BE820002
	s_mov_b32 s3, s3                                           // 0000000022B4: BE830003
	s_mov_b32 s4, s4                                           // 0000000022B8: BE840004
	v_readfirstlane_b32 s7, v3                                 // 0000000022BC: 7E0E0503
	s_waitcnt lgkmcnt(0)                                       // 0000000022C0: BF8CC07F
	s_mul_i32 s67, 0x100, s77                                  // 0000000022C4: 92434DFF 00000100
	s_mul_i32 s76, 0x100, s77                                  // 0000000022CC: 924C4DFF 00000100
	s_mul_i32 s75, s66, s76                                    // 0000000022D4: 924B4C42
	s_mul_i32 s60, s3, 4                                       // 0000000022D8: 923C8403
	s_and_b32 s29, s29, 0xffff                                 // 0000000022DC: 861DFF1D 0000FFFF
	s_add_u32 s28, s60, s28                                    // 0000000022E4: 801C1C3C
	s_addc_u32 s29, 0, s29                                     // 0000000022E8: 821D1D80
	s_load_dword s72, s[28:29], 0x0                            // 0000000022EC: C002120E 00000000
	s_mul_i32 s60, s3, 4                                       // 0000000022F4: 923C8403
	s_and_b32 s81, s81, 0xffff                                 // 0000000022F8: 8651FF51 0000FFFF
	s_add_u32 s80, s60, s80                                    // 000000002300: 8050503C
	s_addc_u32 s81, 0, s81                                     // 000000002304: 82515180
	s_load_dword s84, s[80:81], 0x0                            // 000000002308: C0021528 00000000
	s_load_dword s85, s[80:81], 0x4                            // 000000002310: C0021568 00000004
	s_mov_b32 s10, s76                                         // 000000002318: BE8A004C
	s_mov_b32 s14, s67                                         // 00000000231C: BE8E0043
	s_mul_i32 s60, 4, s65                                      // 000000002320: 923C4184
	s_mov_b32 s26, s60                                         // 000000002324: BE9A003C
	s_mov_b32 s34, 0x80000000                                  // 000000002328: BEA200FF 80000000
	s_mov_b32 s38, 0x80000000                                  // 000000002330: BEA600FF 80000000
	s_mov_b32 s18, 0x80000000                                  // 000000002338: BE9200FF 80000000
	s_mov_b32 s22, 0x80000000                                  // 000000002340: BE9600FF 80000000
	s_mov_b32 s11, 0x20000                                     // 000000002348: BE8B00FF 00020000
	s_mov_b32 s15, 0x20000                                     // 000000002350: BE8F00FF 00020000
	s_mov_b32 s19, 0x20000                                     // 000000002358: BE9300FF 00020000
	s_mov_b32 s23, 0x20000                                     // 000000002360: BE9700FF 00020000
	s_mov_b32 s27, 0x20000                                     // 000000002368: BE9B00FF 00020000
	s_mov_b32 s35, 0x20000                                     // 000000002370: BEA300FF 00020000
	s_mov_b32 s39, 0x20000                                     // 000000002378: BEA700FF 00020000
	s_and_b32 s9, s9, 0xffff                                   // 000000002380: 8609FF09 0000FFFF
	s_and_b32 s13, s13, 0xffff                                 // 000000002388: 860DFF0D 0000FFFF
	s_and_b32 s17, s17, 0xffff                                 // 000000002390: 8611FF11 0000FFFF
	s_and_b32 s21, s21, 0xffff                                 // 000000002398: 8615FF15 0000FFFF
	s_and_b32 s25, s25, 0xffff                                 // 0000000023A0: 8619FF19 0000FFFF
	s_and_b32 s33, s33, 0xffff                                 // 0000000023A8: 8621FF21 0000FFFF
	s_and_b32 s37, s37, 0xffff                                 // 0000000023B0: 8625FF25 0000FFFF
	s_or_b32 s9, s9, 0x40000                                   // 0000000023B8: 8709FF09 00040000
	s_or_b32 s13, s13, 0x40000                                 // 0000000023C0: 870DFF0D 00040000
	s_or_b32 s17, s17, 0x40000                                 // 0000000023C8: 8711FF11 00040000
	s_or_b32 s21, s21, 0x40000                                 // 0000000023D0: 8715FF15 00040000
	s_or_b32 s25, s25, 0x40000                                 // 0000000023D8: 8719FF19 00040000
	s_or_b32 s33, s33, 0x40000                                 // 0000000023E0: 8721FF21 00040000
	s_or_b32 s37, s37, 0x40000                                 // 0000000023E8: 8725FF25 00040000
	v_accvgpr_write_b32 a127, 0                                // 0000000023F0: D3D9407F 18000080
	v_mov_b32_e32 v255, 0                                      // 0000000023F8: 7FFE0280
	s_mov_b32 s88, 0                                           // 0000000023FC: BED80080
	s_waitcnt lgkmcnt(0)                                       // 000000002400: BF8CC07F
	s_sub_u32 s86, s85, s84                                    // 000000002404: 80D65455
	s_mov_b32 s60, 2                                           // 000000002408: BEBC0082
	s_cmp_eq_i32 s60, s86                                      // 00000000240C: BF00563C
	s_cbranch_scc1 label_0DD3                                  // 000000002410: BF850D4E
	s_mov_b32 s60, 3                                           // 000000002414: BEBC0083
	s_cmp_eq_i32 s60, s86                                      // 000000002418: BF00563C
	s_cbranch_scc1 label_2119                                  // 00000000241C: BF852091
	s_mov_b32 s60, 4                                           // 000000002420: BEBC0084
	s_cmp_eq_i32 s60, s86                                      // 000000002424: BF00563C
	s_cbranch_scc1 label_211B                                  // 000000002428: BF852090
	s_mul_i32 s60, s3, s65                                     // 00000000242C: 923C4103
	s_mul_i32 s60, s60, 4                                      // 000000002430: 923C843C
	s_add_u32 s24, s60, s24                                    // 000000002434: 8018183C
	s_addc_u32 s25, 0, s25                                     // 000000002438: 82191980
	s_mov_b32 s56, 64                                          // 00000000243C: BEB800C0
	s_add_u32 s73, s72, 15                                     // 000000002440: 80498F48
	s_lshr_b32 s73, s73, 4                                     // 000000002444: 8F498449
	s_mul_i32 s60, s73, 4                                      // 000000002448: 923C8449
	s_mov_b32 s26, s60                                         // 00000000244C: BE9A003C
	v_and_b32_e32 v42, 3, v0                                   // 000000002450: 26540083
	v_cmp_eq_u32_e64 s[60:61], 0, v42                          // 000000002454: D0CA003C 00025480
	v_and_b32_e32 v41, 12, v0                                  // 00000000245C: 2652008C
	v_add_u32_e32 v1, s7, v41                                  // 000000002460: 68025207
	v_cndmask_b32_e64 v1, 0, v1, s[60:61]                      // 000000002464: D1000001 00F20280
	v_and_b32_e32 v42, 3, v0                                   // 00000000246C: 26540083
	v_cmp_eq_u32_e64 s[60:61], 1, v42                          // 000000002470: D0CA003C 00025481
	v_lshrrev_b32_e32 v41, 4, v0                               // 000000002478: 20520084
	v_and_b32_e32 v42, 12, v0                                  // 00000000247C: 2654008C
	v_add_u32_e32 v41, v42, v41                                // 000000002480: 6852532A
	v_cndmask_b32_e64 v41, 0, v41, s[60:61]                    // 000000002484: D1000029 00F25280
	v_add_u32_e32 v1, v1, v41                                  // 00000000248C: 68025301
	v_lshlrev_b32_e32 v1, 2, v1                                // 000000002490: 24020282
	buffer_load_dword v19, v1, s[24:27], 0 offen               // 000000002494: E0501000 80061301
	v_add_u32_e32 v1, s56, v1                                  // 00000000249C: 68020238
	buffer_load_dword v20, v1, s[24:27], 0 offen               // 0000000024A0: E0501000 80061401
	s_cmp_le_u32 s73, 32                                       // 0000000024A8: BF0BA049
	s_cselect_b32 s56, 0, s56                                  // 0000000024AC: 85383880
	s_mul_i32 s60, s2, s67                                     // 0000000024B0: 923C4302
	s_mul_i32 s61, s84, s74                                    // 0000000024B4: 923D4A54
	s_add_u32 s60, s60, s61                                    // 0000000024B8: 803C3D3C
	s_add_u32 s12, s60, s12                                    // 0000000024BC: 800C0C3C
	s_addc_u32 s13, 0, s13                                     // 0000000024C0: 820D0D80
	s_mul_i32 s60, s7, 0x108                                   // 0000000024C4: 923CFF07 00000108
	s_add_u32 m0, 0, s60                                       // 0000000024CC: 807C3C80
	s_mul_i32 s60, s7, 0x100                                   // 0000000024D0: 923CFF07 00000100
	v_lshlrev_b32_e32 v41, 2, v0                               // 0000000024D8: 24520082
	v_add_u32_e64 v41, v41, s60                                // 0000000024DC: D1340029 00007929
	buffer_load_dword v41, s[12:15], 0 offen lds               // 0000000024E4: E0511000 80030029
	s_mul_i32 s60, 4, 0x108                                    // 0000000024EC: 923CFF84 00000108
	s_add_u32 m0, m0, s60                                      // 0000000024F4: 807C3C7C
	v_add_u32_e32 v41, 0x400, v41                              // 0000000024F8: 685252FF 00000400
	buffer_load_dword v41, s[12:15], 0 offen lds               // 000000002500: E0511000 80030029
	s_mul_i32 s60, 4, 0x108                                    // 000000002508: 923CFF84 00000108
	s_add_u32 m0, m0, s60                                      // 000000002510: 807C3C7C
	v_add_u32_e32 v41, 0x400, v41                              // 000000002514: 685252FF 00000400
	s_mul_i32 s60, s7, 0x108                                   // 00000000251C: 923CFF07 00000108
	v_lshlrev_b32_e32 v41, 2, v0                               // 000000002524: 24520082
	v_add_u32_e64 v41, v41, s60                                // 000000002528: D1340029 00007929
	v_mov_b32_e32 v42, 0                                       // 000000002530: 7E540280
	ds_write_b32 v41, v42 offset:2112                          // 000000002534: D81A0840 00002A29
	ds_write_b32 v41, v42 offset:3168                          // 00000000253C: D81A0C60 00002A29
	v_lshrrev_b32_e32 v41, 4, v0                               // 000000002544: 20520084
	v_lshlrev_b32_e32 v41, 2, v41                              // 000000002548: 24525282
	v_and_b32_e32 v42, 3, v0                                   // 00000000254C: 26540083
	v_add_u32_e32 v41, v42, v41                                // 000000002550: 6852532A
	v_lshlrev_b32_e32 v74, 2, v41                              // 000000002554: 24945282
	v_mov_b32_e32 v75, v74                                     // 000000002558: 7E96034A
	s_mul_i32 s60, s2, 64                                      // 00000000255C: 923CC002
	s_add_u32 s32, s60, s32                                    // 000000002560: 8020203C
	s_addc_u32 s33, 0, s33                                     // 000000002564: 82212180
	s_add_u32 s36, s60, s36                                    // 000000002568: 8024243C
	s_addc_u32 s37, 0, s37                                     // 00000000256C: 82252580
	s_mul_i32 s60, s2, s76                                     // 000000002570: 923C4C02
	s_mul_i32 s61, s84, s75                                    // 000000002574: 923D4B54
	s_add_u32 s60, s60, s61                                    // 000000002578: 803C3D3C
	s_add_u32 s8, s60, s8                                      // 00000000257C: 8008083C
	s_addc_u32 s9, 0, s9                                       // 000000002580: 82090980
	s_mul_i32 s60, s7, 0x100                                   // 000000002584: 923CFF07 00000100
	v_lshlrev_b32_e32 v8, 2, v0                                // 00000000258C: 24100082
	v_add_u32_e64 v8, v8, s60                                  // 000000002590: D1340008 00007908
	s_mov_b32 s70, 0                                           // 000000002598: BEC60080
	s_and_b32 s71, s72, 0xffffff00                             // 00000000259C: 8647FF48 FFFFFF00
	s_mov_b32 s42, 0xff00ff00                                  // 0000000025A4: BEAA00FF FF00FF00
	s_mov_b32 s43, 0xff00ff00                                  // 0000000025AC: BEAB00FF FF00FF00
	s_mov_b32 s44, 0xf0f0f0f0                                  // 0000000025B4: BEAC00FF F0F0F0F0
	s_mov_b32 s45, 0xf0f0f0f0                                  // 0000000025BC: BEAD00FF F0F0F0F0
	v_mul_i32_i24_e64 v78, 64, s66                             // 0000000025C4: D106004E 000084C0
	v_mov_b32_e32 v68, s68                                     // 0000000025CC: 7E880244
	v_mov_b32_e32 v9, -1                                       // 0000000025D0: 7E1202C1
	s_mov_b32 s52, 0x7060302                                   // 0000000025D4: BEB400FF 07060302
	s_mov_b32 s53, 0x400                                       // 0000000025DC: BEB500FF 00000400
	s_mov_b32 s54, 0x40100                                     // 0000000025E4: BEB600FF 00040100
	s_mov_b32 s55, 0x4020100                                   // 0000000025EC: BEB700FF 04020100
	v_mov_b32_dpp v9, v9 row_shl:8 row_mask:0xf bank_mask:0xf bound_ctrl:1// 0000000025F4: 7E1202FA FF090809
	s_mov_b32 s6, 0x3fb8aa3b                                   // 0000000025FC: BE8600FF 3FB8AA3B
	v_mov_b32_e32 v14, 0xff800000                              // 000000002604: 7E1C02FF FF800000
	v_mov_b32_e32 v69, 0xff800000                              // 00000000260C: 7E8A02FF FF800000
	v_mov_b32_e32 v63, 0                                       // 000000002614: 7E7E0280
	v_mov_b32_e32 v47, 0                                       // 000000002618: 7E5E0280
	v_mov_b32_e32 v58, 0                                       // 00000000261C: 7E740280
	v_mov_b32_e32 v22, 0xffff0000                              // 000000002620: 7E2C02FF FFFF0000
	v_mov_b32_e32 v23, 0x7fff0000                              // 000000002628: 7E2E02FF 7FFF0000
	v_mov_b32_e32 v24, 0x7fff                                  // 000000002630: 7E3002FF 00007FFF
	v_add_u32_e32 v1, s56, v1                                  // 000000002638: 68020238
	v_and_b32_e32 v10, 15, v0                                  // 00000000263C: 2614008F
	v_lshlrev_b32_e32 v10, 2, v10                              // 000000002640: 24141482
	v_lshlrev_b32_e32 v11, 2, v0                               // 000000002644: 24160082
	s_mul_i32 s60, 0x100, s7                                   // 000000002648: 923C07FF 00000100
	v_add_u32_e32 v11, s60, v11                                // 000000002650: 6816163C
	v_lshrrev_b32_e32 v41, 4, v0                               // 000000002654: 20520084
	v_lshlrev_b32_e32 v42, 6, v41                              // 000000002658: 24545286
	v_and_b32_e32 v41, 15, v0                                  // 00000000265C: 2652008F
	v_lshlrev_b32_e32 v41, 1, v41                              // 000000002660: 24525281
	v_add_u32_e32 v42, v41, v42                                // 000000002664: 68545529
	v_lshlrev_b32_e32 v12, 2, v42                              // 000000002668: 24185482
	v_lshrrev_b32_e32 v41, 5, v0                               // 00000000266C: 20520085
	v_lshlrev_b32_e32 v42, 5, v41                              // 000000002670: 24545285
	v_and_b32_e32 v41, 31, v0                                  // 000000002674: 2652009F
	v_lshrrev_b32_e32 v43, 4, v41                              // 000000002678: 20565284
	v_add_u32_e32 v42, v43, v42                                // 00000000267C: 6854552B
	v_and_b32_e32 v41, 15, v0                                  // 000000002680: 2652008F
	v_lshlrev_b32_e32 v41, 1, v41                              // 000000002684: 24525281
	v_add_u32_e32 v42, v41, v42                                // 000000002688: 68545529
	v_lshlrev_b32_e32 v41, 2, v42                              // 00000000268C: 24525482
	s_mul_i32 s60, 0x100, s7                                   // 000000002690: 923C07FF 00000100
	v_add_u32_e64 v13, v41, s60                                // 000000002698: D134000D 00007929
	v_lshlrev_b32_e32 v6, 4, v0                                // 0000000026A0: 240C0084
	s_mul_i32 s60, s2, s69                                     // 0000000026A4: 923C4502
	s_add_u32 s16, s60, s16                                    // 0000000026A8: 8010103C
	s_addc_u32 s17, 0, s17                                     // 0000000026AC: 82111180
	v_and_b32_e32 v41, 15, v0                                  // 0000000026B0: 2652008F
	v_lshlrev_b32_e32 v7, 4, v41                               // 0000000026B4: 240E5284
	s_mul_i32 s61, s2, s69                                     // 0000000026B8: 923D4502
	s_mul_i32 s60, s7, 0x100                                   // 0000000026BC: 923CFF07 00000100
	s_add_u32 s60, s60, s61                                    // 0000000026C4: 803C3D3C
	s_add_u32 s20, s60, s20                                    // 0000000026C8: 8014143C
	s_addc_u32 s21, 0, s21                                     // 0000000026CC: 82151580
	s_waitcnt vmcnt(2)                                         // 0000000026D0: BF8C0F72
	v_mul_u32_u24_dpp v41, v19, v68 row_newbcast:0 row_mask:0xf bank_mask:0xf// 0000000026D4: 105288FA FF015013
	v_mul_u32_u24_dpp v42, v19, v68 row_newbcast:4 row_mask:0xf bank_mask:0xf// 0000000026DC: 105488FA FF015413
	v_mul_u32_u24_dpp v43, v19, v68 row_newbcast:8 row_mask:0xf bank_mask:0xf// 0000000026E4: 105688FA FF015813
	v_mul_u32_u24_dpp v44, v19, v68 row_newbcast:12 row_mask:0xf bank_mask:0xf// 0000000026EC: 105888FA FF015C13
	v_add_u32_e32 v25, v41, v6                                 // 0000000026F4: 68320D29
	v_add_u32_e32 v26, v42, v6                                 // 0000000026F8: 68340D2A
	v_add_u32_e32 v27, v43, v6                                 // 0000000026FC: 68360D2B
	v_add_u32_e32 v28, v44, v6                                 // 000000002700: 68380D2C
	v_mul_u32_u24_dpp v41, v19, v68 row_newbcast:1 row_mask:0xf bank_mask:0xf// 000000002704: 105288FA FF015113
	v_mul_u32_u24_dpp v42, v19, v68 row_newbcast:5 row_mask:0xf bank_mask:0xf// 00000000270C: 105488FA FF015513
	v_mul_u32_u24_dpp v43, v19, v68 row_newbcast:9 row_mask:0xf bank_mask:0xf// 000000002714: 105688FA FF015913
	v_mul_u32_u24_dpp v44, v19, v68 row_newbcast:13 row_mask:0xf bank_mask:0xf// 00000000271C: 105888FA FF015D13
	v_add_u32_e32 v33, v41, v7                                 // 000000002724: 68420F29
	v_add_u32_e32 v34, v42, v7                                 // 000000002728: 68440F2A
	v_add_u32_e32 v35, v43, v7                                 // 00000000272C: 68460F2B
	v_add_u32_e32 v36, v44, v7                                 // 000000002730: 68480F2C
	v_mul_u32_u24_dpp v41, v19, v78 quad_perm:[0,0,0,0] row_mask:0xf bank_mask:0xf// 000000002734: 10529CFA FF000013
	v_add_u32_e32 v2, v41, v74                                 // 00000000273C: 68049529
	v_mul_u32_u24_dpp v41, v19, v78 quad_perm:[0,0,0,0] row_mask:0xf bank_mask:0xf// 000000002740: 10529CFA FF000013
	v_add_u32_e32 v70, v41, v75                                // 000000002748: 688C9729
	buffer_load_dword v52, v2, s[32:35], 0 offen               // 00000000274C: E0501000 80083402
	buffer_load_dwordx4 a[0:3], v25, s[16:19], 0 offen         // 000000002754: E05C1000 80840019
	buffer_load_dwordx4 a[4:7], v25, s[16:19], 0 offen offset:1024// 00000000275C: E05C1400 80840419
	buffer_load_dwordx4 a[8:11], v26, s[16:19], 0 offen        // 000000002764: E05C1000 8084081A
	buffer_load_dwordx4 a[12:15], v26, s[16:19], 0 offen offset:1024// 00000000276C: E05C1400 80840C1A
	buffer_load_dwordx4 a[16:19], v27, s[16:19], 0 offen       // 000000002774: E05C1000 8084101B
	buffer_load_dwordx4 a[20:23], v27, s[16:19], 0 offen offset:1024// 00000000277C: E05C1400 8084141B
	buffer_load_dwordx4 a[24:27], v28, s[16:19], 0 offen       // 000000002784: E05C1000 8084181C
	buffer_load_dwordx4 a[28:31], v28, s[16:19], 0 offen offset:1024// 00000000278C: E05C1400 80841C1C
	buffer_load_dword v72, v70, s[36:39], 0 offen              // 000000002794: E0501000 80094846
	buffer_load_dwordx4 a[64:67], v33, s[20:23], 0 offen       // 00000000279C: E05C1000 80854021
	buffer_load_dwordx4 a[68:71], v34, s[20:23], 0 offen       // 0000000027A4: E05C1000 80854422
	buffer_load_dwordx4 a[72:75], v35, s[20:23], 0 offen       // 0000000027AC: E05C1000 80854823
	buffer_load_dwordx4 a[76:79], v36, s[20:23], 0 offen       // 0000000027B4: E05C1000 80854C24
	buffer_load_dwordx4 a[80:83], v33, s[20:23], 0 offen offset:1024// 0000000027BC: E05C1400 80855021
	buffer_load_dwordx4 a[84:87], v34, s[20:23], 0 offen offset:1024// 0000000027C4: E05C1400 80855422
	buffer_load_dwordx4 a[88:91], v35, s[20:23], 0 offen offset:1024// 0000000027CC: E05C1400 80855823
	buffer_load_dwordx4 a[92:95], v36, s[20:23], 0 offen offset:1024// 0000000027D4: E05C1400 80855C24
	v_lshrrev_b32_e32 v41, 4, v0                               // 0000000027DC: 20520084
	v_lshlrev_b32_e32 v42, 1, v41                              // 0000000027E0: 24545281
	v_and_b32_e32 v41, 15, v0                                  // 0000000027E4: 2652008F
	v_mul_i32_i24_e32 v41, 0x42, v41                           // 0000000027E8: 0C5252FF 00000042
	v_add_u32_e32 v42, v41, v42                                // 0000000027F0: 68545529
	v_lshlrev_b32_e32 v4, 2, v42                               // 0000000027F4: 24085482
	s_mul_i32 s60, s7, 32                                      // 0000000027F8: 923CA007
	v_add_u32_e32 v4, s60, v4                                  // 0000000027FC: 6808083C
	s_waitcnt vmcnt(16) lgkmcnt(0)                             // 000000002800: BF8C4070
	s_barrier                                                  // 000000002804: BF8A0000
	ds_read_b64 v[96:97], v4                                   // 000000002808: D8EC0000 60000004
	ds_read_b64 v[100:101], v4 offset:128                      // 000000002810: D8EC0080 64000004
	s_waitcnt lgkmcnt(0)                                       // 000000002818: BF8CC07F
	v_and_b32_e32 v99, 0xffff0000, v97                         // 00000000281C: 26C6C2FF FFFF0000
	v_lshlrev_b32_e32 v98, 16, v97                             // 000000002824: 24C4C290
	v_and_b32_e32 v97, 0xffff0000, v96                         // 000000002828: 26C2C0FF FFFF0000
	v_lshlrev_b32_e32 v96, 16, v96                             // 000000002830: 24C0C090
	v_and_b32_e32 v103, 0xffff0000, v101                       // 000000002834: 26CECAFF FFFF0000
	v_lshlrev_b32_e32 v102, 16, v101                           // 00000000283C: 24CCCA90
	v_and_b32_e32 v101, 0xffff0000, v100                       // 000000002840: 26CAC8FF FFFF0000
	v_lshlrev_b32_e32 v100, 16, v100                           // 000000002848: 24C8C890
	v_mov_b32_e32 v62, 0x358637bd                              // 00000000284C: 7E7C02FF 358637BD
	v_max3_f32 v62, |v96|, |v97|, v62                          // 000000002854: D1D3033E 04FAC360
	v_max3_f32 v62, |v98|, |v99|, v62                          // 00000000285C: D1D3033E 04FAC762
	v_max3_f32 v62, |v100|, |v101|, v62                        // 000000002864: D1D3033E 04FACB64
	v_max3_f32 v62, |v102|, |v103|, v62                        // 00000000286C: D1D3033E 04FACF66
	ds_write_b32 v11, v62 offset:16896                         // 000000002874: D81A4200 00003E0B
	s_waitcnt lgkmcnt(0)                                       // 00000000287C: BF8CC07F
	s_barrier                                                  // 000000002880: BF8A0000
	ds_read_b32 v80, v10 offset:16896                          // 000000002884: D86C4200 5000000A
	ds_read_b32 v81, v10 offset:16960                          // 00000000288C: D86C4240 5100000A
	ds_read_b32 v82, v10 offset:17024                          // 000000002894: D86C4280 5200000A
	ds_read_b32 v83, v10 offset:17088                          // 00000000289C: D86C42C0 5300000A
	ds_read_b32 v84, v10 offset:17152                          // 0000000028A4: D86C4300 5400000A
	ds_read_b32 v85, v10 offset:17216                          // 0000000028AC: D86C4340 5500000A
	ds_read_b32 v86, v10 offset:17280                          // 0000000028B4: D86C4380 5600000A
	ds_read_b32 v87, v10 offset:17344                          // 0000000028BC: D86C43C0 5700000A
	ds_read_b32 v88, v10 offset:17408                          // 0000000028C4: D86C4400 5800000A
	ds_read_b32 v89, v10 offset:17472                          // 0000000028CC: D86C4440 5900000A
	ds_read_b32 v90, v10 offset:17536                          // 0000000028D4: D86C4480 5A00000A
	ds_read_b32 v91, v10 offset:17600                          // 0000000028DC: D86C44C0 5B00000A
	ds_read_b32 v92, v10 offset:17664                          // 0000000028E4: D86C4500 5C00000A
	ds_read_b32 v93, v10 offset:17728                          // 0000000028EC: D86C4540 5D00000A
	ds_read_b32 v94, v10 offset:17792                          // 0000000028F4: D86C4580 5E00000A
	ds_read_b32 v95, v10 offset:17856                          // 0000000028FC: D86C45C0 5F00000A
	s_waitcnt lgkmcnt(0)                                       // 000000002904: BF8CC07F
	v_max3_f32 v62, |v80|, |v81|, v62                          // 000000002908: D1D3033E 04FAA350
	v_max3_f32 v62, |v82|, |v83|, v62                          // 000000002910: D1D3033E 04FAA752
	v_max3_f32 v62, |v84|, |v85|, v62                          // 000000002918: D1D3033E 04FAAB54
	v_max3_f32 v62, |v86|, |v87|, v62                          // 000000002920: D1D3033E 04FAAF56
	v_max3_f32 v62, |v88|, |v89|, v62                          // 000000002928: D1D3033E 04FAB358
	v_max3_f32 v62, |v90|, |v91|, v62                          // 000000002930: D1D3033E 04FAB75A
	v_max3_f32 v62, |v92|, |v93|, v62                          // 000000002938: D1D3033E 04FABB5C
	v_max3_f32 v62, |v94|, |v95|, v62                          // 000000002940: D1D3033E 04FABF5E
	v_rcp_f32_e32 v62, v62                                     // 000000002948: 7E7C453E
	s_nop 1                                                    // 00000000294C: BF800001
	v_mul_f32_e32 v62, 0x43e00000, v62                         // 000000002950: 0A7C7CFF 43E00000
	v_mul_f32_e32 v96, v62, v96                                // 000000002958: 0AC0C13E
	v_mul_f32_e32 v97, v62, v97                                // 00000000295C: 0AC2C33E
	v_mul_f32_e32 v98, v62, v98                                // 000000002960: 0AC4C53E
	v_mul_f32_e32 v99, v62, v99                                // 000000002964: 0AC6C73E
	v_mul_f32_e32 v100, v62, v100                              // 000000002968: 0AC8C93E
	v_mul_f32_e32 v101, v62, v101                              // 00000000296C: 0ACACB3E
	v_mul_f32_e32 v102, v62, v102                              // 000000002970: 0ACCCD3E
	v_mul_f32_e32 v103, v62, v103                              // 000000002974: 0ACECF3E
	v_rcp_f32_e32 v54, v62                                     // 000000002978: 7E6C453E
	v_cvt_pk_fp8_f32 v96, v96, v97                             // 00000000297C: D2A20060 0002C360
	v_cvt_pk_fp8_f32 v96, v98, v99 op_sel:[0,0,1]              // 000000002984: D2A24060 0002C762
	v_cvt_pk_fp8_f32 v97, v100, v101                           // 00000000298C: D2A20061 0002CB64
	v_cvt_pk_fp8_f32 v97, v102, v103 op_sel:[0,0,1]            // 000000002994: D2A24061 0002CF66
	ds_write_b32 v13, v96 offset:25088                         // 00000000299C: D81A6200 0000600D
	ds_write_b32 v13, v97 offset:26112                         // 0000000029A4: D81A6600 0000610D
	s_waitcnt lgkmcnt(0)                                       // 0000000029AC: BF8CC07F
	s_barrier                                                  // 0000000029B0: BF8A0000
	v_and_b32_e32 v54, v9, v54                                 // 0000000029B4: 266C6D09
	ds_read_b64 v[96:97], v12 offset:25088                     // 0000000029B8: D8EC6200 6000000C
	ds_read_b64 v[98:99], v12 offset:25216                     // 0000000029C0: D8EC6280 6200000C
	ds_read_b64 v[100:101], v12 offset:26112                   // 0000000029C8: D8EC6600 6400000C
	ds_read_b64 v[102:103], v12 offset:26240                   // 0000000029D0: D8EC6680 6600000C
	v_mov_b32_e32 v224, 0                                      // 0000000029D8: 7FC00280
	v_mov_b32_e32 v225, 0                                      // 0000000029DC: 7FC20280
	v_mov_b32_e32 v226, 0                                      // 0000000029E0: 7FC40280
	v_mov_b32_e32 v227, 0                                      // 0000000029E4: 7FC60280
	v_mov_b32_e32 v192, 0                                      // 0000000029E8: 7F800280
	v_mov_b32_e32 v193, 0                                      // 0000000029EC: 7F820280
	v_mov_b32_e32 v194, 0                                      // 0000000029F0: 7F840280
	v_mov_b32_e32 v195, 0                                      // 0000000029F4: 7F860280
	v_mov_b32_e32 v196, 0                                      // 0000000029F8: 7F880280
	v_mov_b32_e32 v197, 0                                      // 0000000029FC: 7F8A0280
	v_mov_b32_e32 v198, 0                                      // 000000002A00: 7F8C0280
	v_mov_b32_e32 v199, 0                                      // 000000002A04: 7F8E0280
	v_or_b32_dpp v54, v54, v54 row_shr:8 row_mask:0xf bank_mask:0xf bound_ctrl:1// 000000002A08: 286C6CFA FF091836
	s_waitcnt vmcnt(8) lgkmcnt(0)                              // 000000002A10: BF8C0078
	s_barrier                                                  // 000000002A14: BF8A0000
	s_cmp_lt_u32 s73, 16                                       // 000000002A18: BF0A9049
	s_cbranch_scc1 label_0977                                  // 000000002A1C: BF85076F
	s_cmp_lt_i32 s7, 2                                         // 000000002A20: BF048207
	s_cbranch_scc0 label_05C2                                  // 000000002A24: BF8403B8

0000000000002a28 <label_020A>:
	s_waitcnt vmcnt(8) lgkmcnt(0)                              // 000000002A28: BF8C0078
	v_mul_u32_u24_dpp v41, v20, v68 row_newbcast:0 row_mask:0xf bank_mask:0xf// 000000002A2C: 105288FA FF015014
	v_mul_u32_u24_dpp v42, v20, v68 row_newbcast:4 row_mask:0xf bank_mask:0xf// 000000002A34: 105488FA FF015414
	v_mul_u32_u24_dpp v43, v20, v68 row_newbcast:8 row_mask:0xf bank_mask:0xf// 000000002A3C: 105688FA FF015814
	v_mul_u32_u24_dpp v44, v20, v68 row_newbcast:12 row_mask:0xf bank_mask:0xf// 000000002A44: 105888FA FF015C14
	v_add_u32_e32 v29, v41, v6                                 // 000000002A4C: 683A0D29
	v_add_u32_e32 v30, v42, v6                                 // 000000002A50: 683C0D2A
	v_add_u32_e32 v31, v43, v6                                 // 000000002A54: 683E0D2B
	v_add_u32_e32 v32, v44, v6                                 // 000000002A58: 68400D2C
	v_mul_u32_u24_dpp v41, v20, v78 quad_perm:[0,0,0,0] row_mask:0xf bank_mask:0xf// 000000002A5C: 10529CFA FF000014
	v_add_u32_e32 v3, v41, v74                                 // 000000002A64: 68069529
	v_mul_u32_u24_dpp v41, v20, v78 quad_perm:[0,0,0,0] row_mask:0xf bank_mask:0xf// 000000002A68: 10529CFA FF000014
	v_add_u32_e32 v71, v41, v75                                // 000000002A70: 688E9729
	v_mfma_f32_16x16x32_fp8_fp8 v[128:131], a[0:1], v[96:97], 0// 000000002A74: D3F30080 0A02C100
	v_mfma_f32_16x16x32_fp8_fp8 v[128:131], a[2:3], v[98:99], v[128:131]// 000000002A7C: D3F30080 0E02C502
	buffer_load_dwordx4 a[32:35], v29, s[16:19], 0 offen       // 000000002A84: E05C1000 8084201D
	v_mfma_f32_16x16x32_fp8_fp8 v[128:131], a[4:5], v[100:101], v[128:131]// 000000002A8C: D3F30080 0E02C904
	v_mfma_f32_16x16x32_fp8_fp8 v[128:131], a[6:7], v[102:103], v[128:131]// 000000002A94: D3F30080 0E02CD06
	buffer_load_dword v19, v1, s[24:27], 0 offen               // 000000002A9C: E0501000 80061301
	v_mfma_f32_16x16x32_fp8_fp8 v[132:135], a[8:9], v[96:97], 0// 000000002AA4: D3F30084 0A02C108
	v_mfma_f32_16x16x32_fp8_fp8 v[132:135], a[10:11], v[98:99], v[132:135]// 000000002AAC: D3F30084 0E12C50A
	buffer_load_dwordx4 a[36:39], v29, s[16:19], 0 offen offset:1024// 000000002AB4: E05C1400 8084241D
	v_mfma_f32_16x16x32_fp8_fp8 v[132:135], a[12:13], v[100:101], v[132:135]// 000000002ABC: D3F30084 0E12C90C
	v_mfma_f32_16x16x32_fp8_fp8 v[132:135], a[14:15], v[102:103], v[132:135]// 000000002AC4: D3F30084 0E12CD0E
	v_mfma_f32_16x16x32_fp8_fp8 v[136:139], a[16:17], v[96:97], 0// 000000002ACC: D3F30088 0A02C110
	v_mfma_f32_16x16x32_fp8_fp8 v[136:139], a[18:19], v[98:99], v[136:139]// 000000002AD4: D3F30088 0E22C512
	buffer_load_dwordx4 a[40:43], v30, s[16:19], 0 offen       // 000000002ADC: E05C1000 8084281E
	v_mfma_f32_16x16x32_fp8_fp8 v[136:139], a[20:21], v[100:101], v[136:139]// 000000002AE4: D3F30088 0E22C914
	v_mfma_f32_16x16x32_fp8_fp8 v[136:139], a[22:23], v[102:103], v[136:139]// 000000002AEC: D3F30088 0E22CD16
	v_mfma_f32_16x16x32_fp8_fp8 v[140:143], a[24:25], v[96:97], 0// 000000002AF4: D3F3008C 0A02C118
	v_mfma_f32_16x16x32_fp8_fp8 v[140:143], a[26:27], v[98:99], v[140:143]// 000000002AFC: D3F3008C 0E32C51A
	buffer_load_dwordx4 a[44:47], v30, s[16:19], 0 offen offset:1024// 000000002B04: E05C1400 80842C1E
	v_mfma_f32_16x16x32_fp8_fp8 v[140:143], a[28:29], v[100:101], v[140:143]// 000000002B0C: D3F3008C 0E32C91C
	v_mfma_f32_16x16x32_fp8_fp8 v[140:143], a[30:31], v[102:103], v[140:143]// 000000002B14: D3F3008C 0E32CD1E
	buffer_load_dword v53, v3, s[32:35], 0 offen               // 000000002B1C: E0501000 80083503
	v_mov_b32_dpp v41, v52 row_shr:4 row_mask:0xf bank_mask:0xf// 000000002B24: 7E5202FA FF011434
	v_mov_b32_dpp v42, v52 row_shl:4 row_mask:0xf bank_mask:0xf// 000000002B2C: 7E5402FA FF010434
	v_cndmask_b32_e64 v248, v52, v41, s[44:45]                 // 000000002B34: D10000F8 00B25334
	v_cndmask_b32_e64 v249, v42, v52, s[44:45]                 // 000000002B3C: D10000F9 00B2692A
	v_mov_b32_dpp v41, v72 row_shr:4 row_mask:0xf bank_mask:0xf// 000000002B44: 7E5202FA FF011448
	v_mov_b32_dpp v42, v72 row_shl:4 row_mask:0xf bank_mask:0xf// 000000002B4C: 7E5402FA FF010448
	v_cndmask_b32_e64 v252, v72, v41, s[44:45]                 // 000000002B54: D10000FC 00B25348
	v_cndmask_b32_e64 v253, v42, v72, s[44:45]                 // 000000002B5C: D10000FD 00B2912A
	v_or_b32_dpp v128, v136, v128 row_shr:8 row_mask:0xf bank_mask:0xf bound_ctrl:1// 000000002B64: 290100FA FF091888
	v_or_b32_dpp v129, v137, v129 row_shr:8 row_mask:0xf bank_mask:0xf bound_ctrl:1// 000000002B6C: 290302FA FF091889
	v_or_b32_dpp v130, v138, v130 row_shr:8 row_mask:0xf bank_mask:0xf bound_ctrl:1// 000000002B74: 290504FA FF09188A
	v_or_b32_dpp v131, v139, v131 row_shr:8 row_mask:0xf bank_mask:0xf bound_ctrl:1// 000000002B7C: 290706FA FF09188B
	v_or_b32_dpp v132, v140, v132 row_shr:8 row_mask:0xf bank_mask:0xf bound_ctrl:1// 000000002B84: 290908FA FF09188C
	v_or_b32_dpp v133, v141, v133 row_shr:8 row_mask:0xf bank_mask:0xf bound_ctrl:1// 000000002B8C: 290B0AFA FF09188D
	v_or_b32_dpp v134, v142, v134 row_shr:8 row_mask:0xf bank_mask:0xf bound_ctrl:1// 000000002B94: 290D0CFA FF09188E
	v_or_b32_dpp v135, v143, v135 row_shr:8 row_mask:0xf bank_mask:0xf bound_ctrl:1// 000000002B9C: 290F0EFA FF09188F
	buffer_load_dword v73, v71, s[36:39], 0 offen              // 000000002BA4: E0501000 80094947
	v_mul_f32_e32 v128, v54, v128                              // 000000002BAC: 0B010136
	v_mul_f32_e32 v129, v54, v129                              // 000000002BB0: 0B030336
	v_mul_f32_e32 v130, v54, v130                              // 000000002BB4: 0B050536
	v_mul_f32_e32 v131, v54, v131                              // 000000002BB8: 0B070736
	v_mul_f32_e32 v132, v54, v132                              // 000000002BBC: 0B090936
	v_mul_f32_e32 v133, v54, v133                              // 000000002BC0: 0B0B0B36
	v_mul_f32_e32 v134, v54, v134                              // 000000002BC4: 0B0D0D36
	v_mul_f32_e32 v135, v54, v135                              // 000000002BC8: 0B0F0F36
	buffer_load_dwordx4 a[48:51], v31, s[16:19], 0 offen       // 000000002BCC: E05C1000 8084301F
	v_mul_f32_dpp v128, v248, v128 quad_perm:[0,0,0,0] row_mask:0xf bank_mask:0xf// 000000002BD4: 0B0100FA FF0000F8
	v_mul_f32_dpp v129, v248, v129 quad_perm:[1,1,1,1] row_mask:0xf bank_mask:0xf// 000000002BDC: 0B0302FA FF0055F8
	v_mul_f32_dpp v130, v248, v130 quad_perm:[2,2,2,2] row_mask:0xf bank_mask:0xf// 000000002BE4: 0B0504FA FF00AAF8
	v_mul_f32_dpp v131, v248, v131 quad_perm:[3,3,3,3] row_mask:0xf bank_mask:0xf// 000000002BEC: 0B0706FA FF00FFF8
	v_mul_f32_dpp v132, v249, v132 quad_perm:[0,0,0,0] row_mask:0xf bank_mask:0xf// 000000002BF4: 0B0908FA FF0000F9
	v_mul_f32_dpp v133, v249, v133 quad_perm:[1,1,1,1] row_mask:0xf bank_mask:0xf// 000000002BFC: 0B0B0AFA FF0055F9
	v_mul_f32_dpp v134, v249, v134 quad_perm:[2,2,2,2] row_mask:0xf bank_mask:0xf// 000000002C04: 0B0D0CFA FF00AAF9
	v_mul_f32_dpp v135, v249, v135 quad_perm:[3,3,3,3] row_mask:0xf bank_mask:0xf// 000000002C0C: 0B0F0EFA FF00FFF9
	buffer_load_dwordx4 a[52:55], v31, s[16:19], 0 offen offset:1024// 000000002C14: E05C1400 8084341F
	v_mov_b32_e32 v62, v128                                    // 000000002C1C: 7E7C0380
	v_max3_f32 v62, v128, v129, v62                            // 000000002C20: D1D3003E 04FB0380
	v_max3_f32 v62, v130, v131, v62                            // 000000002C28: D1D3003E 04FB0782
	v_max3_f32 v62, v132, v133, v62                            // 000000002C30: D1D3003E 04FB0B84
	v_max3_f32 v62, v134, v135, v62                            // 000000002C38: D1D3003E 04FB0F86
	ds_write_b32 v11, v62 offset:16896                         // 000000002C40: D81A4200 00003E0B
	buffer_load_dwordx4 a[56:59], v32, s[16:19], 0 offen       // 000000002C48: E05C1000 80843820
	v_mul_u32_u24_dpp v41, v20, v68 row_newbcast:1 row_mask:0xf bank_mask:0xf// 000000002C50: 105288FA FF015114
	v_mul_u32_u24_dpp v42, v20, v68 row_newbcast:5 row_mask:0xf bank_mask:0xf// 000000002C58: 105488FA FF015514
	v_mul_u32_u24_dpp v43, v20, v68 row_newbcast:9 row_mask:0xf bank_mask:0xf// 000000002C60: 105688FA FF015914
	v_mul_u32_u24_dpp v44, v20, v68 row_newbcast:13 row_mask:0xf bank_mask:0xf// 000000002C68: 105888FA FF015D14
	v_add_u32_e32 v37, v41, v7                                 // 000000002C70: 684A0F29
	v_add_u32_e32 v38, v42, v7                                 // 000000002C74: 684C0F2A
	v_add_u32_e32 v39, v43, v7                                 // 000000002C78: 684E0F2B
	v_add_u32_e32 v40, v44, v7                                 // 000000002C7C: 68500F2C
	s_waitcnt lgkmcnt(0)                                       // 000000002C80: BF8CC07F
	s_barrier                                                  // 000000002C84: BF8A0000
	ds_read_b32 v80, v10 offset:16896                          // 000000002C88: D86C4200 5000000A
	ds_read_b32 v81, v10 offset:16960                          // 000000002C90: D86C4240 5100000A
	ds_read_b32 v82, v10 offset:17024                          // 000000002C98: D86C4280 5200000A
	ds_read_b32 v83, v10 offset:17088                          // 000000002CA0: D86C42C0 5300000A
	ds_read_b32 v84, v10 offset:17152                          // 000000002CA8: D86C4300 5400000A
	ds_read_b32 v85, v10 offset:17216                          // 000000002CB0: D86C4340 5500000A
	ds_read_b32 v86, v10 offset:17280                          // 000000002CB8: D86C4380 5600000A
	ds_read_b32 v87, v10 offset:17344                          // 000000002CC0: D86C43C0 5700000A
	ds_read_b32 v88, v10 offset:17408                          // 000000002CC8: D86C4400 5800000A
	ds_read_b32 v89, v10 offset:17472                          // 000000002CD0: D86C4440 5900000A
	ds_read_b32 v90, v10 offset:17536                          // 000000002CD8: D86C4480 5A00000A
	ds_read_b32 v91, v10 offset:17600                          // 000000002CE0: D86C44C0 5B00000A
	ds_read_b32 v92, v10 offset:17664                          // 000000002CE8: D86C4500 5C00000A
	ds_read_b32 v93, v10 offset:17728                          // 000000002CF0: D86C4540 5D00000A
	ds_read_b32 v94, v10 offset:17792                          // 000000002CF8: D86C4580 5E00000A
	ds_read_b32 v95, v10 offset:17856                          // 000000002D00: D86C45C0 5F00000A
	buffer_load_dwordx4 a[60:63], v32, s[16:19], 0 offen offset:1024// 000000002D08: E05C1400 80843C20
	v_mul_f32_e32 v224, v63, v224                              // 000000002D10: 0BC1C13F
	v_mul_f32_e32 v225, v63, v225                              // 000000002D14: 0BC3C33F
	v_mul_f32_e32 v226, v63, v226                              // 000000002D18: 0BC5C53F
	v_mul_f32_e32 v227, v63, v227                              // 000000002D1C: 0BC7C73F
	v_or_b32_dpp v192, v196, v192 row_shr:8 row_mask:0xf bank_mask:0xf bound_ctrl:1// 000000002D20: 298180FA FF0918C4
	v_or_b32_dpp v193, v197, v193 row_shr:8 row_mask:0xf bank_mask:0xf bound_ctrl:1// 000000002D28: 298382FA FF0918C5
	v_or_b32_dpp v194, v198, v194 row_shr:8 row_mask:0xf bank_mask:0xf bound_ctrl:1// 000000002D30: 298584FA FF0918C6
	v_or_b32_dpp v195, v199, v195 row_shr:8 row_mask:0xf bank_mask:0xf bound_ctrl:1// 000000002D38: 298786FA FF0918C7
	s_waitcnt lgkmcnt(0)                                       // 000000002D40: BF8CC07F
	v_max3_f32 v62, v80, v81, v62                              // 000000002D44: D1D3003E 04FAA350
	v_max3_f32 v62, v82, v83, v62                              // 000000002D4C: D1D3003E 04FAA752
	v_max3_f32 v62, v84, v85, v62                              // 000000002D54: D1D3003E 04FAAB54
	v_max3_f32 v62, v86, v87, v62                              // 000000002D5C: D1D3003E 04FAAF56
	v_max3_f32 v62, v88, v89, v62                              // 000000002D64: D1D3003E 04FAB358
	v_max3_f32 v62, v90, v91, v62                              // 000000002D6C: D1D3003E 04FAB75A
	v_max3_f32 v62, v92, v93, v62                              // 000000002D74: D1D3003E 04FABB5C
	v_max3_f32 v62, v94, v95, v62                              // 000000002D7C: D1D3003E 04FABF5E
	buffer_load_dwordx4 a[96:99], v37, s[20:23], 0 offen       // 000000002D84: E05C1000 80856025
	v_cmp_eq_u32_e64 s[40:41], v69, v14                        // 000000002D8C: D0CA0028 00021D45
	s_nop 1                                                    // 000000002D94: BF800001
	v_mov_b32_dpp v41, v62 row_ror:8 row_mask:0xf bank_mask:0xf// 000000002D98: 7E5202FA FF01283E
	v_max_f32_e32 v62, v62, v41                                // 000000002DA0: 167C533E
	v_max_f32_e32 v18, v62, v14                                // 000000002DA4: 16241D3E
	v_mul_f32_e32 v67, s64, v18                                // 000000002DA8: 0A862440
	v_fma_f32 v128, v128, s64, -v67                            // 000000002DAC: D1CB0080 850C8180
	v_fma_f32 v129, v129, s64, -v67                            // 000000002DB4: D1CB0081 850C8181
	v_fma_f32 v130, v130, s64, -v67                            // 000000002DBC: D1CB0082 850C8182
	v_fma_f32 v131, v131, s64, -v67                            // 000000002DC4: D1CB0083 850C8183
	v_fma_f32 v132, v132, s64, -v67                            // 000000002DCC: D1CB0084 850C8184
	v_fma_f32 v133, v133, s64, -v67                            // 000000002DD4: D1CB0085 850C8185
	v_fma_f32 v134, v134, s64, -v67                            // 000000002DDC: D1CB0086 850C8186
	v_fma_f32 v135, v135, s64, -v67                            // 000000002DE4: D1CB0087 850C8187
	buffer_load_dwordx4 a[100:103], v38, s[20:23], 0 offen     // 000000002DEC: E05C1000 80856426
	v_exp_f32_e32 v128, v128                                   // 000000002DF4: 7F004180
	v_exp_f32_e32 v129, v129                                   // 000000002DF8: 7F024181
	v_exp_f32_e32 v130, v130                                   // 000000002DFC: 7F044182
	v_exp_f32_e32 v131, v131                                   // 000000002E00: 7F064183
	v_exp_f32_e32 v132, v132                                   // 000000002E04: 7F084184
	v_exp_f32_e32 v133, v133                                   // 000000002E08: 7F0A4185
	v_exp_f32_e32 v134, v134                                   // 000000002E0C: 7F0C4186
	v_exp_f32_e32 v135, v135                                   // 000000002E10: 7F0E4187
	buffer_load_dwordx4 a[104:107], v39, s[20:23], 0 offen     // 000000002E14: E05C1000 80856827
	v_mul_f32_dpp v240, v252, v128 quad_perm:[0,0,0,0] row_mask:0xf bank_mask:0xf// 000000002E1C: 0BE100FA FF0000FC
	v_mul_f32_dpp v241, v252, v129 quad_perm:[1,1,1,1] row_mask:0xf bank_mask:0xf// 000000002E24: 0BE302FA FF0055FC
	v_mul_f32_dpp v242, v252, v130 quad_perm:[2,2,2,2] row_mask:0xf bank_mask:0xf// 000000002E2C: 0BE504FA FF00AAFC
	v_mul_f32_dpp v243, v252, v131 quad_perm:[3,3,3,3] row_mask:0xf bank_mask:0xf// 000000002E34: 0BE706FA FF00FFFC
	v_mul_f32_dpp v244, v253, v132 quad_perm:[0,0,0,0] row_mask:0xf bank_mask:0xf// 000000002E3C: 0BE908FA FF0000FD
	v_mul_f32_dpp v245, v253, v133 quad_perm:[1,1,1,1] row_mask:0xf bank_mask:0xf// 000000002E44: 0BEB0AFA FF0055FD
	v_mul_f32_dpp v246, v253, v134 quad_perm:[2,2,2,2] row_mask:0xf bank_mask:0xf// 000000002E4C: 0BED0CFA FF00AAFD
	v_mul_f32_dpp v247, v253, v135 quad_perm:[3,3,3,3] row_mask:0xf bank_mask:0xf// 000000002E54: 0BEF0EFA FF00FFFD
	v_mov_b32_e32 v62, 0x358637bd                              // 000000002E5C: 7E7C02FF 358637BD
	v_max3_f32 v62, |v240|, |v241|, v62                        // 000000002E64: D1D3033E 04FBE3F0
	v_max3_f32 v62, |v242|, |v243|, v62                        // 000000002E6C: D1D3033E 04FBE7F2
	v_max3_f32 v62, |v244|, |v245|, v62                        // 000000002E74: D1D3033E 04FBEBF4
	v_max3_f32 v62, |v246|, |v247|, v62                        // 000000002E7C: D1D3033E 04FBEFF6
	buffer_load_dwordx4 a[108:111], v40, s[20:23], 0 offen     // 000000002E84: E05C1000 80856C28
	ds_write_b32 v11, v62 offset:20992                         // 000000002E8C: D81A5200 00003E0B
	v_sub_f32_e32 v63, v14, v18                                // 000000002E94: 047E250E
	v_cndmask_b32_e64 v63, v63, 0, s[40:41]                    // 000000002E98: D100003F 00A1013F
	v_mov_b32_e32 v14, v18                                     // 000000002EA0: 7E1C0312
	v_mul_f32_e32 v63, s64, v63                                // 000000002EA4: 0A7E7E40
	v_exp_f32_e32 v63, v63                                     // 000000002EA8: 7E7E413F
	s_waitcnt lgkmcnt(0)                                       // 000000002EAC: BF8CC07F
	s_barrier                                                  // 000000002EB0: BF8A0000
	ds_read_b32 v80, v10 offset:20992                          // 000000002EB4: D86C5200 5000000A
	ds_read_b32 v81, v10 offset:21056                          // 000000002EBC: D86C5240 5100000A
	ds_read_b32 v82, v10 offset:21120                          // 000000002EC4: D86C5280 5200000A
	ds_read_b32 v83, v10 offset:21184                          // 000000002ECC: D86C52C0 5300000A
	ds_read_b32 v84, v10 offset:21248                          // 000000002ED4: D86C5300 5400000A
	ds_read_b32 v85, v10 offset:21312                          // 000000002EDC: D86C5340 5500000A
	ds_read_b32 v86, v10 offset:21376                          // 000000002EE4: D86C5380 5600000A
	ds_read_b32 v87, v10 offset:21440                          // 000000002EEC: D86C53C0 5700000A
	ds_read_b32 v88, v10 offset:21504                          // 000000002EF4: D86C5400 5800000A
	ds_read_b32 v89, v10 offset:21568                          // 000000002EFC: D86C5440 5900000A
	ds_read_b32 v90, v10 offset:21632                          // 000000002F04: D86C5480 5A00000A
	ds_read_b32 v91, v10 offset:21696                          // 000000002F0C: D86C54C0 5B00000A
	ds_read_b32 v92, v10 offset:21760                          // 000000002F14: D86C5500 5C00000A
	ds_read_b32 v93, v10 offset:21824                          // 000000002F1C: D86C5540 5D00000A
	ds_read_b32 v94, v10 offset:21888                          // 000000002F24: D86C5580 5E00000A
	ds_read_b32 v95, v10 offset:21952                          // 000000002F2C: D86C55C0 5F00000A
	v_mul_f32_e32 v47, v63, v47                                // 000000002F34: 0A5E5F3F
	v_mov_b32_e32 v51, v128                                    // 000000002F38: 7E660380
	v_add_f32_e32 v51, v129, v51                               // 000000002F3C: 02666781
	v_add_f32_e32 v51, v130, v51                               // 000000002F40: 02666782
	v_add_f32_e32 v51, v131, v51                               // 000000002F44: 02666783
	v_add_f32_e32 v51, v132, v51                               // 000000002F48: 02666784
	v_add_f32_e32 v51, v133, v51                               // 000000002F4C: 02666785
	v_add_f32_e32 v51, v134, v51                               // 000000002F50: 02666786
	v_add_f32_e32 v51, v135, v51                               // 000000002F54: 02666787
	v_add_f32_e32 v47, v51, v47                                // 000000002F58: 025E5F33
	s_waitcnt lgkmcnt(0)                                       // 000000002F5C: BF8CC07F
	v_max3_f32 v62, |v80|, |v81|, v62                          // 000000002F60: D1D3033E 04FAA350
	v_max3_f32 v62, |v82|, |v83|, v62                          // 000000002F68: D1D3033E 04FAA752
	v_max3_f32 v62, |v84|, |v85|, v62                          // 000000002F70: D1D3033E 04FAAB54
	v_max3_f32 v62, |v86|, |v87|, v62                          // 000000002F78: D1D3033E 04FAAF56
	v_max3_f32 v62, |v88|, |v89|, v62                          // 000000002F80: D1D3033E 04FAB358
	v_max3_f32 v62, |v90|, |v91|, v62                          // 000000002F88: D1D3033E 04FAB75A
	v_max3_f32 v62, |v92|, |v93|, v62                          // 000000002F90: D1D3033E 04FABB5C
	v_max3_f32 v62, |v94|, |v95|, v62                          // 000000002F98: D1D3033E 04FABF5E
	s_nop 2                                                    // 000000002FA0: BF800002
	v_mov_b32_dpp v41, v62 row_ror:8 row_mask:0xf bank_mask:0xf// 000000002FA4: 7E5202FA FF01283E
	v_max_f32_e32 v62, v62, v41                                // 000000002FAC: 167C533E
	v_rcp_f32_e32 v62, v62                                     // 000000002FB0: 7E7C453E
	s_nop 1                                                    // 000000002FB4: BF800001
	v_mul_f32_e32 v62, 0x43e00000, v62                         // 000000002FB8: 0A7C7CFF 43E00000
	v_mul_f32_e32 v128, v62, v240                              // 000000002FC0: 0B01E13E
	v_mul_f32_e32 v129, v62, v241                              // 000000002FC4: 0B03E33E
	v_mul_f32_e32 v130, v62, v242                              // 000000002FC8: 0B05E53E
	v_mul_f32_e32 v131, v62, v243                              // 000000002FCC: 0B07E73E
	v_mul_f32_e32 v132, v62, v244                              // 000000002FD0: 0B09E93E
	v_mul_f32_e32 v133, v62, v245                              // 000000002FD4: 0B0BEB3E
	v_mul_f32_e32 v134, v62, v246                              // 000000002FD8: 0B0DED3E
	v_mul_f32_e32 v135, v62, v247                              // 000000002FDC: 0B0FEF3E
	v_cvt_pk_fp8_f32 v128, v128, v129                          // 000000002FE0: D2A20080 00030380
	v_cvt_pk_fp8_f32 v128, v130, v131 op_sel:[0,0,1]           // 000000002FE8: D2A24080 00030782
	v_cvt_pk_fp8_f32 v129, v132, v133                          // 000000002FF0: D2A20081 00030B84
	v_cvt_pk_fp8_f32 v129, v134, v135 op_sel:[0,0,1]           // 000000002FF8: D2A24081 00030F86
	ds_write_b32 v13, v128 offset:25088                        // 000000003000: D81A6200 0000800D
	ds_write_b32 v13, v129 offset:26112                        // 000000003008: D81A6600 0000810D
	v_mul_f32_e32 v192, v58, v192                              // 000000003010: 0B81813A
	v_mul_f32_e32 v193, v58, v193                              // 000000003014: 0B83833A
	v_mul_f32_e32 v194, v58, v194                              // 000000003018: 0B85853A
	v_mul_f32_e32 v195, v58, v195                              // 00000000301C: 0B87873A
	v_rcp_f32_e32 v58, v62                                     // 000000003020: 7E74453E
	s_waitcnt lgkmcnt(0)                                       // 000000003024: BF8CC07F
	s_barrier                                                  // 000000003028: BF8A0000
	ds_read_b64 v[128:129], v12 offset:25088                   // 00000000302C: D8EC6200 8000000C
	ds_read_b64 v[130:131], v12 offset:25216                   // 000000003034: D8EC6280 8200000C
	ds_read_b64 v[132:133], v12 offset:26112                   // 00000000303C: D8EC6600 8400000C
	ds_read_b64 v[134:135], v12 offset:26240                   // 000000003044: D8EC6680 8600000C
	v_add_f32_e32 v224, v224, v192                             // 00000000304C: 03C181E0
	v_add_f32_e32 v225, v225, v193                             // 000000003050: 03C383E1
	v_add_f32_e32 v226, v226, v194                             // 000000003054: 03C585E2
	v_add_f32_e32 v227, v227, v195                             // 000000003058: 03C787E3
	s_waitcnt lgkmcnt(3)                                       // 00000000305C: BF8CC37F
	v_mov_b32_dpp v136, v128 row_shl:8 row_mask:0xf bank_mask:0xf bound_ctrl:1// 000000003060: 7F1002FA FF090880
	v_and_b32_e32 v128, v128, v9                               // 000000003068: 27001380
	v_mov_b32_dpp v137, v129 row_shl:8 row_mask:0xf bank_mask:0xf bound_ctrl:1// 00000000306C: 7F1202FA FF090881
	v_and_b32_e32 v129, v129, v9                               // 000000003074: 27021381
	s_waitcnt lgkmcnt(2)                                       // 000000003078: BF8CC27F
	v_mov_b32_dpp v138, v130 row_shl:8 row_mask:0xf bank_mask:0xf bound_ctrl:1// 00000000307C: 7F1402FA FF090882
	v_and_b32_e32 v130, v130, v9                               // 000000003084: 27041382
	v_mov_b32_dpp v139, v131 row_shl:8 row_mask:0xf bank_mask:0xf bound_ctrl:1// 000000003088: 7F1602FA FF090883
	v_and_b32_e32 v131, v131, v9                               // 000000003090: 27061383
	s_waitcnt lgkmcnt(1)                                       // 000000003094: BF8CC17F
	v_mov_b32_dpp v140, v132 row_shl:8 row_mask:0xf bank_mask:0xf bound_ctrl:1// 000000003098: 7F1802FA FF090884
	v_and_b32_e32 v132, v132, v9                               // 0000000030A0: 27081384
	v_mov_b32_dpp v141, v133 row_shl:8 row_mask:0xf bank_mask:0xf bound_ctrl:1// 0000000030A4: 7F1A02FA FF090885
	v_and_b32_e32 v133, v133, v9                               // 0000000030AC: 270A1385
	s_waitcnt lgkmcnt(0)                                       // 0000000030B0: BF8CC07F
	v_mov_b32_dpp v142, v134 row_shl:8 row_mask:0xf bank_mask:0xf bound_ctrl:1// 0000000030B4: 7F1C02FA FF090886
	v_and_b32_e32 v134, v134, v9                               // 0000000030BC: 270C1386
	v_mov_b32_dpp v143, v135 row_shl:8 row_mask:0xf bank_mask:0xf bound_ctrl:1// 0000000030C0: 7F1E02FA FF090887
	v_and_b32_e32 v135, v135, v9                               // 0000000030C8: 270E1387
	s_waitcnt vmcnt(15)                                        // 0000000030CC: BF8C0F7F
	v_mfma_f32_16x16x32_fp8_fp8 v[192:195], a[64:65], v[128:129], 0// 0000000030D0: D3F300C0 0A030140
	v_mfma_f32_16x16x32_fp8_fp8 v[192:195], a[66:67], v[130:131], v[192:195]// 0000000030D8: D3F300C0 0F030542
	buffer_load_dwordx4 a[112:115], v37, s[20:23], 0 offen offset:1024// 0000000030E0: E05C1400 80857025
	v_mfma_f32_16x16x32_fp8_fp8 v[192:195], a[68:69], v[132:133], v[192:195]// 0000000030E8: D3F300C0 0F030944
	v_mfma_f32_16x16x32_fp8_fp8 v[192:195], a[70:71], v[134:135], v[192:195]// 0000000030F0: D3F300C0 0F030D46
	v_mfma_f32_16x16x32_fp8_fp8 v[192:195], a[72:73], v[136:137], v[192:195]// 0000000030F8: D3F300C0 0F031148
	v_mfma_f32_16x16x32_fp8_fp8 v[192:195], a[74:75], v[138:139], v[192:195]// 000000003100: D3F300C0 0F03154A
	buffer_load_dwordx4 a[116:119], v38, s[20:23], 0 offen offset:1024// 000000003108: E05C1400 80857426
	v_mfma_f32_16x16x32_fp8_fp8 v[192:195], a[76:77], v[140:141], v[192:195]// 000000003110: D3F300C0 0F03194C
	v_mfma_f32_16x16x32_fp8_fp8 v[192:195], a[78:79], v[142:143], v[192:195]// 000000003118: D3F300C0 0F031D4E
	v_mfma_f32_16x16x32_fp8_fp8 v[196:199], a[80:81], v[128:129], 0// 000000003120: D3F300C4 0A030150
	v_mfma_f32_16x16x32_fp8_fp8 v[196:199], a[82:83], v[130:131], v[196:199]// 000000003128: D3F300C4 0F130552
	buffer_load_dwordx4 a[120:123], v39, s[20:23], 0 offen offset:1024// 000000003130: E05C1400 80857827
	v_mfma_f32_16x16x32_fp8_fp8 v[196:199], a[84:85], v[132:133], v[196:199]// 000000003138: D3F300C4 0F130954
	v_mfma_f32_16x16x32_fp8_fp8 v[196:199], a[86:87], v[134:135], v[196:199]// 000000003140: D3F300C4 0F130D56
	v_mfma_f32_16x16x32_fp8_fp8 v[196:199], a[88:89], v[136:137], v[196:199]// 000000003148: D3F300C4 0F131158
	v_mfma_f32_16x16x32_fp8_fp8 v[196:199], a[90:91], v[138:139], v[196:199]// 000000003150: D3F300C4 0F13155A
	buffer_load_dwordx4 a[124:127], v40, s[20:23], 0 offen offset:1024// 000000003158: E05C1400 80857C28
	v_mfma_f32_16x16x32_fp8_fp8 v[196:199], a[92:93], v[140:141], v[196:199]// 000000003160: D3F300C4 0F13195C
	s_lshr_b32 s57, s70, 4                                     // 000000003168: 8F398446
	s_add_u32 s57, 48, s57                                     // 00000000316C: 803939B0
	v_mfma_f32_16x16x32_fp8_fp8 v[196:199], a[94:95], v[142:143], v[196:199]// 000000003170: D3F300C4 0F131D5E
	s_cmp_ge_u32 s57, s73                                      // 000000003178: BF094939
	s_cselect_b32 s56, 0, s56                                  // 00000000317C: 85383880
	v_add_u32_e32 v1, s56, v1                                  // 000000003180: 68020238
	s_addk_i32 s70, 0x100                                      // 000000003184: B7460100
	s_cmp_lt_i32 s70, s71                                      // 000000003188: BF044746
	s_cbranch_scc0 label_05BF                                  // 00000000318C: BF8401DB
	s_waitcnt vmcnt(8) lgkmcnt(0)                              // 000000003190: BF8C0078
	v_mul_u32_u24_dpp v41, v19, v68 row_newbcast:0 row_mask:0xf bank_mask:0xf// 000000003194: 105288FA FF015013
	v_mul_u32_u24_dpp v42, v19, v68 row_newbcast:4 row_mask:0xf bank_mask:0xf// 00000000319C: 105488FA FF015413
	v_mul_u32_u24_dpp v43, v19, v68 row_newbcast:8 row_mask:0xf bank_mask:0xf// 0000000031A4: 105688FA FF015813
	v_mul_u32_u24_dpp v44, v19, v68 row_newbcast:12 row_mask:0xf bank_mask:0xf// 0000000031AC: 105888FA FF015C13
	v_add_u32_e32 v25, v41, v6                                 // 0000000031B4: 68320D29
	v_add_u32_e32 v26, v42, v6                                 // 0000000031B8: 68340D2A
	v_add_u32_e32 v27, v43, v6                                 // 0000000031BC: 68360D2B
	v_add_u32_e32 v28, v44, v6                                 // 0000000031C0: 68380D2C
	v_mul_u32_u24_dpp v41, v19, v78 quad_perm:[0,0,0,0] row_mask:0xf bank_mask:0xf// 0000000031C4: 10529CFA FF000013
	v_add_u32_e32 v2, v41, v74                                 // 0000000031CC: 68049529
	v_mul_u32_u24_dpp v41, v19, v78 quad_perm:[0,0,0,0] row_mask:0xf bank_mask:0xf// 0000000031D0: 10529CFA FF000013
	v_add_u32_e32 v70, v41, v75                                // 0000000031D8: 688C9729
	v_mfma_f32_16x16x32_fp8_fp8 v[128:131], a[32:33], v[96:97], 0// 0000000031DC: D3F30080 0A02C120
	v_mfma_f32_16x16x32_fp8_fp8 v[128:131], a[34:35], v[98:99], v[128:131]// 0000000031E4: D3F30080 0E02C522
	buffer_load_dwordx4 a[0:3], v25, s[16:19], 0 offen         // 0000000031EC: E05C1000 80840019
	v_mfma_f32_16x16x32_fp8_fp8 v[128:131], a[36:37], v[100:101], v[128:131]// 0000000031F4: D3F30080 0E02C924
	v_mfma_f32_16x16x32_fp8_fp8 v[128:131], a[38:39], v[102:103], v[128:131]// 0000000031FC: D3F30080 0E02CD26
	buffer_load_dword v20, v1, s[24:27], 0 offen               // 000000003204: E0501000 80061401
	v_mfma_f32_16x16x32_fp8_fp8 v[132:135], a[40:41], v[96:97], 0// 00000000320C: D3F30084 0A02C128
	v_mfma_f32_16x16x32_fp8_fp8 v[132:135], a[42:43], v[98:99], v[132:135]// 000000003214: D3F30084 0E12C52A
	buffer_load_dwordx4 a[4:7], v25, s[16:19], 0 offen offset:1024// 00000000321C: E05C1400 80840419
	v_mfma_f32_16x16x32_fp8_fp8 v[132:135], a[44:45], v[100:101], v[132:135]// 000000003224: D3F30084 0E12C92C
	v_mfma_f32_16x16x32_fp8_fp8 v[132:135], a[46:47], v[102:103], v[132:135]// 00000000322C: D3F30084 0E12CD2E
	v_mfma_f32_16x16x32_fp8_fp8 v[136:139], a[48:49], v[96:97], 0// 000000003234: D3F30088 0A02C130
	v_mfma_f32_16x16x32_fp8_fp8 v[136:139], a[50:51], v[98:99], v[136:139]// 00000000323C: D3F30088 0E22C532
	buffer_load_dwordx4 a[8:11], v26, s[16:19], 0 offen        // 000000003244: E05C1000 8084081A
	v_mfma_f32_16x16x32_fp8_fp8 v[136:139], a[52:53], v[100:101], v[136:139]// 00000000324C: D3F30088 0E22C934
	v_mfma_f32_16x16x32_fp8_fp8 v[136:139], a[54:55], v[102:103], v[136:139]// 000000003254: D3F30088 0E22CD36
	v_mfma_f32_16x16x32_fp8_fp8 v[140:143], a[56:57], v[96:97], 0// 00000000325C: D3F3008C 0A02C138
	v_mfma_f32_16x16x32_fp8_fp8 v[140:143], a[58:59], v[98:99], v[140:143]// 000000003264: D3F3008C 0E32C53A
	buffer_load_dwordx4 a[12:15], v26, s[16:19], 0 offen offset:1024// 00000000326C: E05C1400 80840C1A
	v_mfma_f32_16x16x32_fp8_fp8 v[140:143], a[60:61], v[100:101], v[140:143]// 000000003274: D3F3008C 0E32C93C
	v_mfma_f32_16x16x32_fp8_fp8 v[140:143], a[62:63], v[102:103], v[140:143]// 00000000327C: D3F3008C 0E32CD3E
	buffer_load_dword v52, v2, s[32:35], 0 offen               // 000000003284: E0501000 80083402
	v_mov_b32_dpp v41, v53 row_shr:4 row_mask:0xf bank_mask:0xf// 00000000328C: 7E5202FA FF011435
	v_mov_b32_dpp v42, v53 row_shl:4 row_mask:0xf bank_mask:0xf// 000000003294: 7E5402FA FF010435
	v_cndmask_b32_e64 v248, v53, v41, s[44:45]                 // 00000000329C: D10000F8 00B25335
	v_cndmask_b32_e64 v249, v42, v53, s[44:45]                 // 0000000032A4: D10000F9 00B26B2A
	v_mov_b32_dpp v41, v73 row_shr:4 row_mask:0xf bank_mask:0xf// 0000000032AC: 7E5202FA FF011449
	v_mov_b32_dpp v42, v73 row_shl:4 row_mask:0xf bank_mask:0xf// 0000000032B4: 7E5402FA FF010449
	v_cndmask_b32_e64 v252, v73, v41, s[44:45]                 // 0000000032BC: D10000FC 00B25349
	v_cndmask_b32_e64 v253, v42, v73, s[44:45]                 // 0000000032C4: D10000FD 00B2932A
	v_or_b32_dpp v128, v136, v128 row_shr:8 row_mask:0xf bank_mask:0xf bound_ctrl:1// 0000000032CC: 290100FA FF091888
	v_or_b32_dpp v129, v137, v129 row_shr:8 row_mask:0xf bank_mask:0xf bound_ctrl:1// 0000000032D4: 290302FA FF091889
	v_or_b32_dpp v130, v138, v130 row_shr:8 row_mask:0xf bank_mask:0xf bound_ctrl:1// 0000000032DC: 290504FA FF09188A
	v_or_b32_dpp v131, v139, v131 row_shr:8 row_mask:0xf bank_mask:0xf bound_ctrl:1// 0000000032E4: 290706FA FF09188B
	v_or_b32_dpp v132, v140, v132 row_shr:8 row_mask:0xf bank_mask:0xf bound_ctrl:1// 0000000032EC: 290908FA FF09188C
	v_or_b32_dpp v133, v141, v133 row_shr:8 row_mask:0xf bank_mask:0xf bound_ctrl:1// 0000000032F4: 290B0AFA FF09188D
	v_or_b32_dpp v134, v142, v134 row_shr:8 row_mask:0xf bank_mask:0xf bound_ctrl:1// 0000000032FC: 290D0CFA FF09188E
	v_or_b32_dpp v135, v143, v135 row_shr:8 row_mask:0xf bank_mask:0xf bound_ctrl:1// 000000003304: 290F0EFA FF09188F
	buffer_load_dword v72, v70, s[36:39], 0 offen              // 00000000330C: E0501000 80094846
	v_mul_f32_e32 v128, v54, v128                              // 000000003314: 0B010136
	v_mul_f32_e32 v129, v54, v129                              // 000000003318: 0B030336
	v_mul_f32_e32 v130, v54, v130                              // 00000000331C: 0B050536
	v_mul_f32_e32 v131, v54, v131                              // 000000003320: 0B070736
	v_mul_f32_e32 v132, v54, v132                              // 000000003324: 0B090936
	v_mul_f32_e32 v133, v54, v133                              // 000000003328: 0B0B0B36
	v_mul_f32_e32 v134, v54, v134                              // 00000000332C: 0B0D0D36
	v_mul_f32_e32 v135, v54, v135                              // 000000003330: 0B0F0F36
	buffer_load_dwordx4 a[16:19], v27, s[16:19], 0 offen       // 000000003334: E05C1000 8084101B
	v_mul_f32_dpp v128, v248, v128 quad_perm:[0,0,0,0] row_mask:0xf bank_mask:0xf// 00000000333C: 0B0100FA FF0000F8
	v_mul_f32_dpp v129, v248, v129 quad_perm:[1,1,1,1] row_mask:0xf bank_mask:0xf// 000000003344: 0B0302FA FF0055F8
	v_mul_f32_dpp v130, v248, v130 quad_perm:[2,2,2,2] row_mask:0xf bank_mask:0xf// 00000000334C: 0B0504FA FF00AAF8
	v_mul_f32_dpp v131, v248, v131 quad_perm:[3,3,3,3] row_mask:0xf bank_mask:0xf// 000000003354: 0B0706FA FF00FFF8
	v_mul_f32_dpp v132, v249, v132 quad_perm:[0,0,0,0] row_mask:0xf bank_mask:0xf// 00000000335C: 0B0908FA FF0000F9
	v_mul_f32_dpp v133, v249, v133 quad_perm:[1,1,1,1] row_mask:0xf bank_mask:0xf// 000000003364: 0B0B0AFA FF0055F9
	v_mul_f32_dpp v134, v249, v134 quad_perm:[2,2,2,2] row_mask:0xf bank_mask:0xf// 00000000336C: 0B0D0CFA FF00AAF9
	v_mul_f32_dpp v135, v249, v135 quad_perm:[3,3,3,3] row_mask:0xf bank_mask:0xf// 000000003374: 0B0F0EFA FF00FFF9
	buffer_load_dwordx4 a[20:23], v27, s[16:19], 0 offen offset:1024// 00000000337C: E05C1400 8084141B
	v_mov_b32_e32 v62, v128                                    // 000000003384: 7E7C0380
	v_max3_f32 v62, v128, v129, v62                            // 000000003388: D1D3003E 04FB0380
	v_max3_f32 v62, v130, v131, v62                            // 000000003390: D1D3003E 04FB0782
	v_max3_f32 v62, v132, v133, v62                            // 000000003398: D1D3003E 04FB0B84
	v_max3_f32 v62, v134, v135, v62                            // 0000000033A0: D1D3003E 04FB0F86
	ds_write_b32 v11, v62 offset:16896                         // 0000000033A8: D81A4200 00003E0B
	buffer_load_dwordx4 a[24:27], v28, s[16:19], 0 offen       // 0000000033B0: E05C1000 8084181C
	v_mul_u32_u24_dpp v41, v19, v68 row_newbcast:1 row_mask:0xf bank_mask:0xf// 0000000033B8: 105288FA FF015113
	v_mul_u32_u24_dpp v42, v19, v68 row_newbcast:5 row_mask:0xf bank_mask:0xf// 0000000033C0: 105488FA FF015513
	v_mul_u32_u24_dpp v43, v19, v68 row_newbcast:9 row_mask:0xf bank_mask:0xf// 0000000033C8: 105688FA FF015913
	v_mul_u32_u24_dpp v44, v19, v68 row_newbcast:13 row_mask:0xf bank_mask:0xf// 0000000033D0: 105888FA FF015D13
	v_add_u32_e32 v33, v41, v7                                 // 0000000033D8: 68420F29
	v_add_u32_e32 v34, v42, v7                                 // 0000000033DC: 68440F2A
	v_add_u32_e32 v35, v43, v7                                 // 0000000033E0: 68460F2B
	v_add_u32_e32 v36, v44, v7                                 // 0000000033E4: 68480F2C
	s_waitcnt lgkmcnt(0)                                       // 0000000033E8: BF8CC07F
	s_barrier                                                  // 0000000033EC: BF8A0000
	ds_read_b32 v80, v10 offset:16896                          // 0000000033F0: D86C4200 5000000A
	ds_read_b32 v81, v10 offset:16960                          // 0000000033F8: D86C4240 5100000A
	ds_read_b32 v82, v10 offset:17024                          // 000000003400: D86C4280 5200000A
	ds_read_b32 v83, v10 offset:17088                          // 000000003408: D86C42C0 5300000A
	ds_read_b32 v84, v10 offset:17152                          // 000000003410: D86C4300 5400000A
	ds_read_b32 v85, v10 offset:17216                          // 000000003418: D86C4340 5500000A
	ds_read_b32 v86, v10 offset:17280                          // 000000003420: D86C4380 5600000A
	ds_read_b32 v87, v10 offset:17344                          // 000000003428: D86C43C0 5700000A
	ds_read_b32 v88, v10 offset:17408                          // 000000003430: D86C4400 5800000A
	ds_read_b32 v89, v10 offset:17472                          // 000000003438: D86C4440 5900000A
	ds_read_b32 v90, v10 offset:17536                          // 000000003440: D86C4480 5A00000A
	ds_read_b32 v91, v10 offset:17600                          // 000000003448: D86C44C0 5B00000A
	ds_read_b32 v92, v10 offset:17664                          // 000000003450: D86C4500 5C00000A
	ds_read_b32 v93, v10 offset:17728                          // 000000003458: D86C4540 5D00000A
	ds_read_b32 v94, v10 offset:17792                          // 000000003460: D86C4580 5E00000A
	ds_read_b32 v95, v10 offset:17856                          // 000000003468: D86C45C0 5F00000A
	buffer_load_dwordx4 a[28:31], v28, s[16:19], 0 offen offset:1024// 000000003470: E05C1400 80841C1C
	v_mul_f32_e32 v224, v63, v224                              // 000000003478: 0BC1C13F
	v_mul_f32_e32 v225, v63, v225                              // 00000000347C: 0BC3C33F
	v_mul_f32_e32 v226, v63, v226                              // 000000003480: 0BC5C53F
	v_mul_f32_e32 v227, v63, v227                              // 000000003484: 0BC7C73F
	v_or_b32_dpp v192, v196, v192 row_shr:8 row_mask:0xf bank_mask:0xf bound_ctrl:1// 000000003488: 298180FA FF0918C4
	v_or_b32_dpp v193, v197, v193 row_shr:8 row_mask:0xf bank_mask:0xf bound_ctrl:1// 000000003490: 298382FA FF0918C5
	v_or_b32_dpp v194, v198, v194 row_shr:8 row_mask:0xf bank_mask:0xf bound_ctrl:1// 000000003498: 298584FA FF0918C6
	v_or_b32_dpp v195, v199, v195 row_shr:8 row_mask:0xf bank_mask:0xf bound_ctrl:1// 0000000034A0: 298786FA FF0918C7
	s_waitcnt lgkmcnt(0)                                       // 0000000034A8: BF8CC07F
	v_max3_f32 v62, v80, v81, v62                              // 0000000034AC: D1D3003E 04FAA350
	v_max3_f32 v62, v82, v83, v62                              // 0000000034B4: D1D3003E 04FAA752
	v_max3_f32 v62, v84, v85, v62                              // 0000000034BC: D1D3003E 04FAAB54
	v_max3_f32 v62, v86, v87, v62                              // 0000000034C4: D1D3003E 04FAAF56
	v_max3_f32 v62, v88, v89, v62                              // 0000000034CC: D1D3003E 04FAB358
	v_max3_f32 v62, v90, v91, v62                              // 0000000034D4: D1D3003E 04FAB75A
	v_max3_f32 v62, v92, v93, v62                              // 0000000034DC: D1D3003E 04FABB5C
	v_max3_f32 v62, v94, v95, v62                              // 0000000034E4: D1D3003E 04FABF5E
	buffer_load_dwordx4 a[64:67], v33, s[20:23], 0 offen       // 0000000034EC: E05C1000 80854021
	v_cmp_eq_u32_e64 s[40:41], v69, v14                        // 0000000034F4: D0CA0028 00021D45
	s_nop 1                                                    // 0000000034FC: BF800001
	v_mov_b32_dpp v41, v62 row_ror:8 row_mask:0xf bank_mask:0xf// 000000003500: 7E5202FA FF01283E
	v_max_f32_e32 v62, v62, v41                                // 000000003508: 167C533E
	v_max_f32_e32 v18, v62, v14                                // 00000000350C: 16241D3E
	v_mul_f32_e32 v67, s64, v18                                // 000000003510: 0A862440
	v_fma_f32 v128, v128, s64, -v67                            // 000000003514: D1CB0080 850C8180
	v_fma_f32 v129, v129, s64, -v67                            // 00000000351C: D1CB0081 850C8181
	v_fma_f32 v130, v130, s64, -v67                            // 000000003524: D1CB0082 850C8182
	v_fma_f32 v131, v131, s64, -v67                            // 00000000352C: D1CB0083 850C8183
	v_fma_f32 v132, v132, s64, -v67                            // 000000003534: D1CB0084 850C8184
	v_fma_f32 v133, v133, s64, -v67                            // 00000000353C: D1CB0085 850C8185
	v_fma_f32 v134, v134, s64, -v67                            // 000000003544: D1CB0086 850C8186
	v_fma_f32 v135, v135, s64, -v67                            // 00000000354C: D1CB0087 850C8187
	buffer_load_dwordx4 a[68:71], v34, s[20:23], 0 offen       // 000000003554: E05C1000 80854422
	v_exp_f32_e32 v128, v128                                   // 00000000355C: 7F004180
	v_exp_f32_e32 v129, v129                                   // 000000003560: 7F024181
	v_exp_f32_e32 v130, v130                                   // 000000003564: 7F044182
	v_exp_f32_e32 v131, v131                                   // 000000003568: 7F064183
	v_exp_f32_e32 v132, v132                                   // 00000000356C: 7F084184
	v_exp_f32_e32 v133, v133                                   // 000000003570: 7F0A4185
	v_exp_f32_e32 v134, v134                                   // 000000003574: 7F0C4186
	v_exp_f32_e32 v135, v135                                   // 000000003578: 7F0E4187
	buffer_load_dwordx4 a[72:75], v35, s[20:23], 0 offen       // 00000000357C: E05C1000 80854823
	v_mul_f32_dpp v240, v252, v128 quad_perm:[0,0,0,0] row_mask:0xf bank_mask:0xf// 000000003584: 0BE100FA FF0000FC
	v_mul_f32_dpp v241, v252, v129 quad_perm:[1,1,1,1] row_mask:0xf bank_mask:0xf// 00000000358C: 0BE302FA FF0055FC
	v_mul_f32_dpp v242, v252, v130 quad_perm:[2,2,2,2] row_mask:0xf bank_mask:0xf// 000000003594: 0BE504FA FF00AAFC
	v_mul_f32_dpp v243, v252, v131 quad_perm:[3,3,3,3] row_mask:0xf bank_mask:0xf// 00000000359C: 0BE706FA FF00FFFC
	v_mul_f32_dpp v244, v253, v132 quad_perm:[0,0,0,0] row_mask:0xf bank_mask:0xf// 0000000035A4: 0BE908FA FF0000FD
	v_mul_f32_dpp v245, v253, v133 quad_perm:[1,1,1,1] row_mask:0xf bank_mask:0xf// 0000000035AC: 0BEB0AFA FF0055FD
	v_mul_f32_dpp v246, v253, v134 quad_perm:[2,2,2,2] row_mask:0xf bank_mask:0xf// 0000000035B4: 0BED0CFA FF00AAFD
	v_mul_f32_dpp v247, v253, v135 quad_perm:[3,3,3,3] row_mask:0xf bank_mask:0xf// 0000000035BC: 0BEF0EFA FF00FFFD
	v_mov_b32_e32 v62, 0x358637bd                              // 0000000035C4: 7E7C02FF 358637BD
	v_max3_f32 v62, |v240|, |v241|, v62                        // 0000000035CC: D1D3033E 04FBE3F0
	v_max3_f32 v62, |v242|, |v243|, v62                        // 0000000035D4: D1D3033E 04FBE7F2
	v_max3_f32 v62, |v244|, |v245|, v62                        // 0000000035DC: D1D3033E 04FBEBF4
	v_max3_f32 v62, |v246|, |v247|, v62                        // 0000000035E4: D1D3033E 04FBEFF6
	buffer_load_dwordx4 a[76:79], v36, s[20:23], 0 offen       // 0000000035EC: E05C1000 80854C24
	ds_write_b32 v11, v62 offset:20992                         // 0000000035F4: D81A5200 00003E0B
	v_sub_f32_e32 v63, v14, v18                                // 0000000035FC: 047E250E
	v_cndmask_b32_e64 v63, v63, 0, s[40:41]                    // 000000003600: D100003F 00A1013F
	v_mov_b32_e32 v14, v18                                     // 000000003608: 7E1C0312
	v_mul_f32_e32 v63, s64, v63                                // 00000000360C: 0A7E7E40
	v_exp_f32_e32 v63, v63                                     // 000000003610: 7E7E413F
	s_waitcnt lgkmcnt(0)                                       // 000000003614: BF8CC07F
	s_barrier                                                  // 000000003618: BF8A0000
	ds_read_b32 v80, v10 offset:20992                          // 00000000361C: D86C5200 5000000A
	ds_read_b32 v81, v10 offset:21056                          // 000000003624: D86C5240 5100000A
	ds_read_b32 v82, v10 offset:21120                          // 00000000362C: D86C5280 5200000A
	ds_read_b32 v83, v10 offset:21184                          // 000000003634: D86C52C0 5300000A
	ds_read_b32 v84, v10 offset:21248                          // 00000000363C: D86C5300 5400000A
	ds_read_b32 v85, v10 offset:21312                          // 000000003644: D86C5340 5500000A
	ds_read_b32 v86, v10 offset:21376                          // 00000000364C: D86C5380 5600000A
	ds_read_b32 v87, v10 offset:21440                          // 000000003654: D86C53C0 5700000A
	ds_read_b32 v88, v10 offset:21504                          // 00000000365C: D86C5400 5800000A
	ds_read_b32 v89, v10 offset:21568                          // 000000003664: D86C5440 5900000A
	ds_read_b32 v90, v10 offset:21632                          // 00000000366C: D86C5480 5A00000A
	ds_read_b32 v91, v10 offset:21696                          // 000000003674: D86C54C0 5B00000A
	ds_read_b32 v92, v10 offset:21760                          // 00000000367C: D86C5500 5C00000A
	ds_read_b32 v93, v10 offset:21824                          // 000000003684: D86C5540 5D00000A
	ds_read_b32 v94, v10 offset:21888                          // 00000000368C: D86C5580 5E00000A
	ds_read_b32 v95, v10 offset:21952                          // 000000003694: D86C55C0 5F00000A
	v_mul_f32_e32 v47, v63, v47                                // 00000000369C: 0A5E5F3F
	v_mov_b32_e32 v51, v128                                    // 0000000036A0: 7E660380
	v_add_f32_e32 v51, v129, v51                               // 0000000036A4: 02666781
	v_add_f32_e32 v51, v130, v51                               // 0000000036A8: 02666782
	v_add_f32_e32 v51, v131, v51                               // 0000000036AC: 02666783
	v_add_f32_e32 v51, v132, v51                               // 0000000036B0: 02666784
	v_add_f32_e32 v51, v133, v51                               // 0000000036B4: 02666785
	v_add_f32_e32 v51, v134, v51                               // 0000000036B8: 02666786
	v_add_f32_e32 v51, v135, v51                               // 0000000036BC: 02666787
	v_add_f32_e32 v47, v51, v47                                // 0000000036C0: 025E5F33
	s_waitcnt lgkmcnt(0)                                       // 0000000036C4: BF8CC07F
	v_max3_f32 v62, |v80|, |v81|, v62                          // 0000000036C8: D1D3033E 04FAA350
	v_max3_f32 v62, |v82|, |v83|, v62                          // 0000000036D0: D1D3033E 04FAA752
	v_max3_f32 v62, |v84|, |v85|, v62                          // 0000000036D8: D1D3033E 04FAAB54
	v_max3_f32 v62, |v86|, |v87|, v62                          // 0000000036E0: D1D3033E 04FAAF56
	v_max3_f32 v62, |v88|, |v89|, v62                          // 0000000036E8: D1D3033E 04FAB358
	v_max3_f32 v62, |v90|, |v91|, v62                          // 0000000036F0: D1D3033E 04FAB75A
	v_max3_f32 v62, |v92|, |v93|, v62                          // 0000000036F8: D1D3033E 04FABB5C
	v_max3_f32 v62, |v94|, |v95|, v62                          // 000000003700: D1D3033E 04FABF5E
	s_nop 2                                                    // 000000003708: BF800002
	v_mov_b32_dpp v41, v62 row_ror:8 row_mask:0xf bank_mask:0xf// 00000000370C: 7E5202FA FF01283E
	v_max_f32_e32 v62, v62, v41                                // 000000003714: 167C533E
	v_rcp_f32_e32 v62, v62                                     // 000000003718: 7E7C453E
	s_nop 1                                                    // 00000000371C: BF800001
	v_mul_f32_e32 v62, 0x43e00000, v62                         // 000000003720: 0A7C7CFF 43E00000
	v_mul_f32_e32 v128, v62, v240                              // 000000003728: 0B01E13E
	v_mul_f32_e32 v129, v62, v241                              // 00000000372C: 0B03E33E
	v_mul_f32_e32 v130, v62, v242                              // 000000003730: 0B05E53E
	v_mul_f32_e32 v131, v62, v243                              // 000000003734: 0B07E73E
	v_mul_f32_e32 v132, v62, v244                              // 000000003738: 0B09E93E
	v_mul_f32_e32 v133, v62, v245                              // 00000000373C: 0B0BEB3E
	v_mul_f32_e32 v134, v62, v246                              // 000000003740: 0B0DED3E
	v_mul_f32_e32 v135, v62, v247                              // 000000003744: 0B0FEF3E
	v_cvt_pk_fp8_f32 v128, v128, v129                          // 000000003748: D2A20080 00030380
	v_cvt_pk_fp8_f32 v128, v130, v131 op_sel:[0,0,1]           // 000000003750: D2A24080 00030782
	v_cvt_pk_fp8_f32 v129, v132, v133                          // 000000003758: D2A20081 00030B84
	v_cvt_pk_fp8_f32 v129, v134, v135 op_sel:[0,0,1]           // 000000003760: D2A24081 00030F86
	ds_write_b32 v13, v128 offset:25088                        // 000000003768: D81A6200 0000800D
	ds_write_b32 v13, v129 offset:26112                        // 000000003770: D81A6600 0000810D
	v_mul_f32_e32 v192, v58, v192                              // 000000003778: 0B81813A
	v_mul_f32_e32 v193, v58, v193                              // 00000000377C: 0B83833A
	v_mul_f32_e32 v194, v58, v194                              // 000000003780: 0B85853A
	v_mul_f32_e32 v195, v58, v195                              // 000000003784: 0B87873A
	v_rcp_f32_e32 v58, v62                                     // 000000003788: 7E74453E
	s_waitcnt lgkmcnt(0)                                       // 00000000378C: BF8CC07F
	s_barrier                                                  // 000000003790: BF8A0000
	ds_read_b64 v[128:129], v12 offset:25088                   // 000000003794: D8EC6200 8000000C
	ds_read_b64 v[130:131], v12 offset:25216                   // 00000000379C: D8EC6280 8200000C
	ds_read_b64 v[132:133], v12 offset:26112                   // 0000000037A4: D8EC6600 8400000C
	ds_read_b64 v[134:135], v12 offset:26240                   // 0000000037AC: D8EC6680 8600000C
	v_add_f32_e32 v224, v224, v192                             // 0000000037B4: 03C181E0
	v_add_f32_e32 v225, v225, v193                             // 0000000037B8: 03C383E1
	v_add_f32_e32 v226, v226, v194                             // 0000000037BC: 03C585E2
	v_add_f32_e32 v227, v227, v195                             // 0000000037C0: 03C787E3
	s_waitcnt lgkmcnt(3)                                       // 0000000037C4: BF8CC37F
	v_mov_b32_dpp v136, v128 row_shl:8 row_mask:0xf bank_mask:0xf bound_ctrl:1// 0000000037C8: 7F1002FA FF090880
	v_and_b32_e32 v128, v128, v9                               // 0000000037D0: 27001380
	v_mov_b32_dpp v137, v129 row_shl:8 row_mask:0xf bank_mask:0xf bound_ctrl:1// 0000000037D4: 7F1202FA FF090881
	v_and_b32_e32 v129, v129, v9                               // 0000000037DC: 27021381
	s_waitcnt lgkmcnt(2)                                       // 0000000037E0: BF8CC27F
	v_mov_b32_dpp v138, v130 row_shl:8 row_mask:0xf bank_mask:0xf bound_ctrl:1// 0000000037E4: 7F1402FA FF090882
	v_and_b32_e32 v130, v130, v9                               // 0000000037EC: 27041382
	v_mov_b32_dpp v139, v131 row_shl:8 row_mask:0xf bank_mask:0xf bound_ctrl:1// 0000000037F0: 7F1602FA FF090883
	v_and_b32_e32 v131, v131, v9                               // 0000000037F8: 27061383
	s_waitcnt lgkmcnt(1)                                       // 0000000037FC: BF8CC17F
	v_mov_b32_dpp v140, v132 row_shl:8 row_mask:0xf bank_mask:0xf bound_ctrl:1// 000000003800: 7F1802FA FF090884
	v_and_b32_e32 v132, v132, v9                               // 000000003808: 27081384
	v_mov_b32_dpp v141, v133 row_shl:8 row_mask:0xf bank_mask:0xf bound_ctrl:1// 00000000380C: 7F1A02FA FF090885
	v_and_b32_e32 v133, v133, v9                               // 000000003814: 270A1385
	s_waitcnt lgkmcnt(0)                                       // 000000003818: BF8CC07F
	v_mov_b32_dpp v142, v134 row_shl:8 row_mask:0xf bank_mask:0xf bound_ctrl:1// 00000000381C: 7F1C02FA FF090886
	v_and_b32_e32 v134, v134, v9                               // 000000003824: 270C1386
	v_mov_b32_dpp v143, v135 row_shl:8 row_mask:0xf bank_mask:0xf bound_ctrl:1// 000000003828: 7F1E02FA FF090887
	v_and_b32_e32 v135, v135, v9                               // 000000003830: 270E1387
	s_waitcnt vmcnt(15)                                        // 000000003834: BF8C0F7F
	v_mfma_f32_16x16x32_fp8_fp8 v[192:195], a[96:97], v[128:129], 0// 000000003838: D3F300C0 0A030160
	v_mfma_f32_16x16x32_fp8_fp8 v[192:195], a[98:99], v[130:131], v[192:195]// 000000003840: D3F300C0 0F030562
	buffer_load_dwordx4 a[80:83], v33, s[20:23], 0 offen offset:1024// 000000003848: E05C1400 80855021
	v_mfma_f32_16x16x32_fp8_fp8 v[192:195], a[100:101], v[132:133], v[192:195]// 000000003850: D3F300C0 0F030964
	v_mfma_f32_16x16x32_fp8_fp8 v[192:195], a[102:103], v[134:135], v[192:195]// 000000003858: D3F300C0 0F030D66
	v_mfma_f32_16x16x32_fp8_fp8 v[192:195], a[104:105], v[136:137], v[192:195]// 000000003860: D3F300C0 0F031168
	v_mfma_f32_16x16x32_fp8_fp8 v[192:195], a[106:107], v[138:139], v[192:195]// 000000003868: D3F300C0 0F03156A
	buffer_load_dwordx4 a[84:87], v34, s[20:23], 0 offen offset:1024// 000000003870: E05C1400 80855422
	v_mfma_f32_16x16x32_fp8_fp8 v[192:195], a[108:109], v[140:141], v[192:195]// 000000003878: D3F300C0 0F03196C
	v_mfma_f32_16x16x32_fp8_fp8 v[192:195], a[110:111], v[142:143], v[192:195]// 000000003880: D3F300C0 0F031D6E
	v_mfma_f32_16x16x32_fp8_fp8 v[196:199], a[112:113], v[128:129], 0// 000000003888: D3F300C4 0A030170
	v_mfma_f32_16x16x32_fp8_fp8 v[196:199], a[114:115], v[130:131], v[196:199]// 000000003890: D3F300C4 0F130572
	buffer_load_dwordx4 a[88:91], v35, s[20:23], 0 offen offset:1024// 000000003898: E05C1400 80855823
	v_mfma_f32_16x16x32_fp8_fp8 v[196:199], a[116:117], v[132:133], v[196:199]// 0000000038A0: D3F300C4 0F130974
	v_mfma_f32_16x16x32_fp8_fp8 v[196:199], a[118:119], v[134:135], v[196:199]// 0000000038A8: D3F300C4 0F130D76
	v_mfma_f32_16x16x32_fp8_fp8 v[196:199], a[120:121], v[136:137], v[196:199]// 0000000038B0: D3F300C4 0F131178
	v_mfma_f32_16x16x32_fp8_fp8 v[196:199], a[122:123], v[138:139], v[196:199]// 0000000038B8: D3F300C4 0F13157A
	buffer_load_dwordx4 a[92:95], v36, s[20:23], 0 offen offset:1024// 0000000038C0: E05C1400 80855C24
	v_mfma_f32_16x16x32_fp8_fp8 v[196:199], a[124:125], v[140:141], v[196:199]// 0000000038C8: D3F300C4 0F13197C
	s_lshr_b32 s57, s70, 4                                     // 0000000038D0: 8F398446
	s_add_u32 s57, 48, s57                                     // 0000000038D4: 803939B0
	v_mfma_f32_16x16x32_fp8_fp8 v[196:199], a[126:127], v[142:143], v[196:199]// 0000000038D8: D3F300C4 0F131D7E
	s_cmp_ge_u32 s57, s73                                      // 0000000038E0: BF094939
	s_cselect_b32 s56, 0, s56                                  // 0000000038E4: 85383880
	v_add_u32_e32 v1, s56, v1                                  // 0000000038E8: 68020238
	s_addk_i32 s70, 0x100                                      // 0000000038EC: B7460100
	s_cmp_lt_i32 s70, s71                                      // 0000000038F0: BF044746
	s_cbranch_scc0 label_05BF                                  // 0000000038F4: BF840001
	s_branch label_020A                                        // 0000000038F8: BF82FC4B

00000000000038fc <label_05BF>:
	s_nop 0                                                    // 0000000038FC: BF800000
	s_nop 0                                                    // 000000003900: BF800000
	s_branch label_0977                                        // 000000003904: BF8203B5

0000000000003908 <label_05C2>:
	s_waitcnt vmcnt(8) lgkmcnt(0)                              // 000000003908: BF8C0078
	v_mul_u32_u24_dpp v41, v20, v68 row_newbcast:0 row_mask:0xf bank_mask:0xf// 00000000390C: 105288FA FF015014
	v_mul_u32_u24_dpp v42, v20, v68 row_newbcast:4 row_mask:0xf bank_mask:0xf// 000000003914: 105488FA FF015414
	v_mul_u32_u24_dpp v43, v20, v68 row_newbcast:8 row_mask:0xf bank_mask:0xf// 00000000391C: 105688FA FF015814
	v_mul_u32_u24_dpp v44, v20, v68 row_newbcast:12 row_mask:0xf bank_mask:0xf// 000000003924: 105888FA FF015C14
	v_add_u32_e32 v29, v41, v6                                 // 00000000392C: 683A0D29
	v_add_u32_e32 v30, v42, v6                                 // 000000003930: 683C0D2A
	v_add_u32_e32 v31, v43, v6                                 // 000000003934: 683E0D2B
	v_add_u32_e32 v32, v44, v6                                 // 000000003938: 68400D2C
	v_mul_u32_u24_dpp v41, v20, v78 quad_perm:[0,0,0,0] row_mask:0xf bank_mask:0xf// 00000000393C: 10529CFA FF000014
	v_add_u32_e32 v3, v41, v74                                 // 000000003944: 68069529
	v_mul_u32_u24_dpp v41, v20, v78 quad_perm:[0,0,0,0] row_mask:0xf bank_mask:0xf// 000000003948: 10529CFA FF000014
	v_add_u32_e32 v71, v41, v75                                // 000000003950: 688E9729
	v_mfma_f32_16x16x32_fp8_fp8 v[128:131], a[0:1], v[96:97], 0// 000000003954: D3F30080 0A02C100
	buffer_load_dwordx4 a[32:35], v29, s[16:19], 0 offen       // 00000000395C: E05C1000 8084201D
	v_mfma_f32_16x16x32_fp8_fp8 v[128:131], a[2:3], v[98:99], v[128:131]// 000000003964: D3F30080 0E02C502
	v_mfma_f32_16x16x32_fp8_fp8 v[128:131], a[4:5], v[100:101], v[128:131]// 00000000396C: D3F30080 0E02C904
	buffer_load_dword v19, v1, s[24:27], 0 offen               // 000000003974: E0501000 80061301
	v_mfma_f32_16x16x32_fp8_fp8 v[128:131], a[6:7], v[102:103], v[128:131]// 00000000397C: D3F30080 0E02CD06
	v_mfma_f32_16x16x32_fp8_fp8 v[132:135], a[8:9], v[96:97], 0// 000000003984: D3F30084 0A02C108
	buffer_load_dwordx4 a[36:39], v29, s[16:19], 0 offen offset:1024// 00000000398C: E05C1400 8084241D
	v_mfma_f32_16x16x32_fp8_fp8 v[132:135], a[10:11], v[98:99], v[132:135]// 000000003994: D3F30084 0E12C50A
	v_mfma_f32_16x16x32_fp8_fp8 v[132:135], a[12:13], v[100:101], v[132:135]// 00000000399C: D3F30084 0E12C90C
	v_mfma_f32_16x16x32_fp8_fp8 v[132:135], a[14:15], v[102:103], v[132:135]// 0000000039A4: D3F30084 0E12CD0E
	v_mfma_f32_16x16x32_fp8_fp8 v[136:139], a[16:17], v[96:97], 0// 0000000039AC: D3F30088 0A02C110
	buffer_load_dwordx4 a[40:43], v30, s[16:19], 0 offen       // 0000000039B4: E05C1000 8084281E
	v_mfma_f32_16x16x32_fp8_fp8 v[136:139], a[18:19], v[98:99], v[136:139]// 0000000039BC: D3F30088 0E22C512
	v_mfma_f32_16x16x32_fp8_fp8 v[136:139], a[20:21], v[100:101], v[136:139]// 0000000039C4: D3F30088 0E22C914
	v_mfma_f32_16x16x32_fp8_fp8 v[136:139], a[22:23], v[102:103], v[136:139]// 0000000039CC: D3F30088 0E22CD16
	v_mfma_f32_16x16x32_fp8_fp8 v[140:143], a[24:25], v[96:97], 0// 0000000039D4: D3F3008C 0A02C118
	buffer_load_dwordx4 a[44:47], v30, s[16:19], 0 offen offset:1024// 0000000039DC: E05C1400 80842C1E
	v_mfma_f32_16x16x32_fp8_fp8 v[140:143], a[26:27], v[98:99], v[140:143]// 0000000039E4: D3F3008C 0E32C51A
	v_mfma_f32_16x16x32_fp8_fp8 v[140:143], a[28:29], v[100:101], v[140:143]// 0000000039EC: D3F3008C 0E32C91C
	v_mfma_f32_16x16x32_fp8_fp8 v[140:143], a[30:31], v[102:103], v[140:143]// 0000000039F4: D3F3008C 0E32CD1E
	buffer_load_dword v53, v3, s[32:35], 0 offen               // 0000000039FC: E0501000 80083503
	v_mov_b32_dpp v41, v52 row_shr:4 row_mask:0xf bank_mask:0xf// 000000003A04: 7E5202FA FF011434
	v_mov_b32_dpp v42, v52 row_shl:4 row_mask:0xf bank_mask:0xf// 000000003A0C: 7E5402FA FF010434
	v_cndmask_b32_e64 v248, v52, v41, s[44:45]                 // 000000003A14: D10000F8 00B25334
	v_cndmask_b32_e64 v249, v42, v52, s[44:45]                 // 000000003A1C: D10000F9 00B2692A
	v_mov_b32_dpp v41, v72 row_shr:4 row_mask:0xf bank_mask:0xf// 000000003A24: 7E5202FA FF011448
	v_mov_b32_dpp v42, v72 row_shl:4 row_mask:0xf bank_mask:0xf// 000000003A2C: 7E5402FA FF010448
	v_cndmask_b32_e64 v252, v72, v41, s[44:45]                 // 000000003A34: D10000FC 00B25348
	v_cndmask_b32_e64 v253, v42, v72, s[44:45]                 // 000000003A3C: D10000FD 00B2912A
	v_or_b32_dpp v128, v136, v128 row_shr:8 row_mask:0xf bank_mask:0xf bound_ctrl:1// 000000003A44: 290100FA FF091888
	v_or_b32_dpp v129, v137, v129 row_shr:8 row_mask:0xf bank_mask:0xf bound_ctrl:1// 000000003A4C: 290302FA FF091889
	v_or_b32_dpp v130, v138, v130 row_shr:8 row_mask:0xf bank_mask:0xf bound_ctrl:1// 000000003A54: 290504FA FF09188A
	v_or_b32_dpp v131, v139, v131 row_shr:8 row_mask:0xf bank_mask:0xf bound_ctrl:1// 000000003A5C: 290706FA FF09188B
	v_or_b32_dpp v132, v140, v132 row_shr:8 row_mask:0xf bank_mask:0xf bound_ctrl:1// 000000003A64: 290908FA FF09188C
	v_or_b32_dpp v133, v141, v133 row_shr:8 row_mask:0xf bank_mask:0xf bound_ctrl:1// 000000003A6C: 290B0AFA FF09188D
	v_or_b32_dpp v134, v142, v134 row_shr:8 row_mask:0xf bank_mask:0xf bound_ctrl:1// 000000003A74: 290D0CFA FF09188E
	v_or_b32_dpp v135, v143, v135 row_shr:8 row_mask:0xf bank_mask:0xf bound_ctrl:1// 000000003A7C: 290F0EFA FF09188F
	buffer_load_dword v73, v71, s[36:39], 0 offen              // 000000003A84: E0501000 80094947
	v_mul_f32_e32 v128, v54, v128                              // 000000003A8C: 0B010136
	v_mul_f32_e32 v129, v54, v129                              // 000000003A90: 0B030336
	v_mul_f32_e32 v130, v54, v130                              // 000000003A94: 0B050536
	v_mul_f32_e32 v131, v54, v131                              // 000000003A98: 0B070736
	v_mul_f32_e32 v132, v54, v132                              // 000000003A9C: 0B090936
	v_mul_f32_e32 v133, v54, v133                              // 000000003AA0: 0B0B0B36
	v_mul_f32_e32 v134, v54, v134                              // 000000003AA4: 0B0D0D36
	v_mul_f32_e32 v135, v54, v135                              // 000000003AA8: 0B0F0F36
	buffer_load_dwordx4 a[48:51], v31, s[16:19], 0 offen       // 000000003AAC: E05C1000 8084301F
	v_mul_f32_dpp v128, v248, v128 quad_perm:[0,0,0,0] row_mask:0xf bank_mask:0xf// 000000003AB4: 0B0100FA FF0000F8
	v_mul_f32_dpp v129, v248, v129 quad_perm:[1,1,1,1] row_mask:0xf bank_mask:0xf// 000000003ABC: 0B0302FA FF0055F8
	v_mul_f32_dpp v130, v248, v130 quad_perm:[2,2,2,2] row_mask:0xf bank_mask:0xf// 000000003AC4: 0B0504FA FF00AAF8
	v_mul_f32_dpp v131, v248, v131 quad_perm:[3,3,3,3] row_mask:0xf bank_mask:0xf// 000000003ACC: 0B0706FA FF00FFF8
	v_mul_f32_dpp v132, v249, v132 quad_perm:[0,0,0,0] row_mask:0xf bank_mask:0xf// 000000003AD4: 0B0908FA FF0000F9
	v_mul_f32_dpp v133, v249, v133 quad_perm:[1,1,1,1] row_mask:0xf bank_mask:0xf// 000000003ADC: 0B0B0AFA FF0055F9
	v_mul_f32_dpp v134, v249, v134 quad_perm:[2,2,2,2] row_mask:0xf bank_mask:0xf// 000000003AE4: 0B0D0CFA FF00AAF9
	v_mul_f32_dpp v135, v249, v135 quad_perm:[3,3,3,3] row_mask:0xf bank_mask:0xf// 000000003AEC: 0B0F0EFA FF00FFF9
	buffer_load_dwordx4 a[52:55], v31, s[16:19], 0 offen offset:1024// 000000003AF4: E05C1400 8084341F
	v_mov_b32_e32 v62, v128                                    // 000000003AFC: 7E7C0380
	v_max3_f32 v62, v128, v129, v62                            // 000000003B00: D1D3003E 04FB0380
	v_max3_f32 v62, v130, v131, v62                            // 000000003B08: D1D3003E 04FB0782
	v_max3_f32 v62, v132, v133, v62                            // 000000003B10: D1D3003E 04FB0B84
	v_max3_f32 v62, v134, v135, v62                            // 000000003B18: D1D3003E 04FB0F86
	ds_write_b32 v11, v62 offset:16896                         // 000000003B20: D81A4200 00003E0B
	buffer_load_dwordx4 a[56:59], v32, s[16:19], 0 offen       // 000000003B28: E05C1000 80843820
	v_mul_u32_u24_dpp v41, v20, v68 row_newbcast:1 row_mask:0xf bank_mask:0xf// 000000003B30: 105288FA FF015114
	v_mul_u32_u24_dpp v42, v20, v68 row_newbcast:5 row_mask:0xf bank_mask:0xf// 000000003B38: 105488FA FF015514
	v_mul_u32_u24_dpp v43, v20, v68 row_newbcast:9 row_mask:0xf bank_mask:0xf// 000000003B40: 105688FA FF015914
	v_mul_u32_u24_dpp v44, v20, v68 row_newbcast:13 row_mask:0xf bank_mask:0xf// 000000003B48: 105888FA FF015D14
	v_add_u32_e32 v37, v41, v7                                 // 000000003B50: 684A0F29
	v_add_u32_e32 v38, v42, v7                                 // 000000003B54: 684C0F2A
	v_add_u32_e32 v39, v43, v7                                 // 000000003B58: 684E0F2B
	v_add_u32_e32 v40, v44, v7                                 // 000000003B5C: 68500F2C
	s_waitcnt lgkmcnt(0)                                       // 000000003B60: BF8CC07F
	s_barrier                                                  // 000000003B64: BF8A0000
	ds_read_b32 v80, v10 offset:16896                          // 000000003B68: D86C4200 5000000A
	ds_read_b32 v81, v10 offset:16960                          // 000000003B70: D86C4240 5100000A
	ds_read_b32 v82, v10 offset:17024                          // 000000003B78: D86C4280 5200000A
	ds_read_b32 v83, v10 offset:17088                          // 000000003B80: D86C42C0 5300000A
	ds_read_b32 v84, v10 offset:17152                          // 000000003B88: D86C4300 5400000A
	ds_read_b32 v85, v10 offset:17216                          // 000000003B90: D86C4340 5500000A
	ds_read_b32 v86, v10 offset:17280                          // 000000003B98: D86C4380 5600000A
	ds_read_b32 v87, v10 offset:17344                          // 000000003BA0: D86C43C0 5700000A
	ds_read_b32 v88, v10 offset:17408                          // 000000003BA8: D86C4400 5800000A
	ds_read_b32 v89, v10 offset:17472                          // 000000003BB0: D86C4440 5900000A
	ds_read_b32 v90, v10 offset:17536                          // 000000003BB8: D86C4480 5A00000A
	ds_read_b32 v91, v10 offset:17600                          // 000000003BC0: D86C44C0 5B00000A
	ds_read_b32 v92, v10 offset:17664                          // 000000003BC8: D86C4500 5C00000A
	ds_read_b32 v93, v10 offset:17728                          // 000000003BD0: D86C4540 5D00000A
	ds_read_b32 v94, v10 offset:17792                          // 000000003BD8: D86C4580 5E00000A
	ds_read_b32 v95, v10 offset:17856                          // 000000003BE0: D86C45C0 5F00000A
	buffer_load_dwordx4 a[60:63], v32, s[16:19], 0 offen offset:1024// 000000003BE8: E05C1400 80843C20
	v_mul_f32_e32 v224, v63, v224                              // 000000003BF0: 0BC1C13F
	v_mul_f32_e32 v225, v63, v225                              // 000000003BF4: 0BC3C33F
	v_mul_f32_e32 v226, v63, v226                              // 000000003BF8: 0BC5C53F
	v_mul_f32_e32 v227, v63, v227                              // 000000003BFC: 0BC7C73F
	v_or_b32_dpp v192, v196, v192 row_shr:8 row_mask:0xf bank_mask:0xf bound_ctrl:1// 000000003C00: 298180FA FF0918C4
	v_or_b32_dpp v193, v197, v193 row_shr:8 row_mask:0xf bank_mask:0xf bound_ctrl:1// 000000003C08: 298382FA FF0918C5
	v_or_b32_dpp v194, v198, v194 row_shr:8 row_mask:0xf bank_mask:0xf bound_ctrl:1// 000000003C10: 298584FA FF0918C6
	v_or_b32_dpp v195, v199, v195 row_shr:8 row_mask:0xf bank_mask:0xf bound_ctrl:1// 000000003C18: 298786FA FF0918C7
	s_waitcnt lgkmcnt(0)                                       // 000000003C20: BF8CC07F
	v_max3_f32 v62, v80, v81, v62                              // 000000003C24: D1D3003E 04FAA350
	v_max3_f32 v62, v82, v83, v62                              // 000000003C2C: D1D3003E 04FAA752
	v_max3_f32 v62, v84, v85, v62                              // 000000003C34: D1D3003E 04FAAB54
	v_max3_f32 v62, v86, v87, v62                              // 000000003C3C: D1D3003E 04FAAF56
	v_max3_f32 v62, v88, v89, v62                              // 000000003C44: D1D3003E 04FAB358
	v_max3_f32 v62, v90, v91, v62                              // 000000003C4C: D1D3003E 04FAB75A
	v_max3_f32 v62, v92, v93, v62                              // 000000003C54: D1D3003E 04FABB5C
	v_max3_f32 v62, v94, v95, v62                              // 000000003C5C: D1D3003E 04FABF5E
	buffer_load_dwordx4 a[96:99], v37, s[20:23], 0 offen       // 000000003C64: E05C1000 80856025
	v_cmp_eq_u32_e64 s[40:41], v69, v14                        // 000000003C6C: D0CA0028 00021D45
	s_nop 1                                                    // 000000003C74: BF800001
	v_mov_b32_dpp v41, v62 row_ror:8 row_mask:0xf bank_mask:0xf// 000000003C78: 7E5202FA FF01283E
	v_max_f32_e32 v62, v62, v41                                // 000000003C80: 167C533E
	v_max_f32_e32 v18, v62, v14                                // 000000003C84: 16241D3E
	v_mul_f32_e32 v67, s64, v18                                // 000000003C88: 0A862440
	v_fma_f32 v128, v128, s64, -v67                            // 000000003C8C: D1CB0080 850C8180
	v_fma_f32 v129, v129, s64, -v67                            // 000000003C94: D1CB0081 850C8181
	v_fma_f32 v130, v130, s64, -v67                            // 000000003C9C: D1CB0082 850C8182
	v_fma_f32 v131, v131, s64, -v67                            // 000000003CA4: D1CB0083 850C8183
	v_fma_f32 v132, v132, s64, -v67                            // 000000003CAC: D1CB0084 850C8184
	v_fma_f32 v133, v133, s64, -v67                            // 000000003CB4: D1CB0085 850C8185
	v_fma_f32 v134, v134, s64, -v67                            // 000000003CBC: D1CB0086 850C8186
	v_fma_f32 v135, v135, s64, -v67                            // 000000003CC4: D1CB0087 850C8187
	buffer_load_dwordx4 a[100:103], v38, s[20:23], 0 offen     // 000000003CCC: E05C1000 80856426
	v_exp_f32_e32 v128, v128                                   // 000000003CD4: 7F004180
	v_exp_f32_e32 v129, v129                                   // 000000003CD8: 7F024181
	v_exp_f32_e32 v130, v130                                   // 000000003CDC: 7F044182
	v_exp_f32_e32 v131, v131                                   // 000000003CE0: 7F064183
	v_exp_f32_e32 v132, v132                                   // 000000003CE4: 7F084184
	v_exp_f32_e32 v133, v133                                   // 000000003CE8: 7F0A4185
	v_exp_f32_e32 v134, v134                                   // 000000003CEC: 7F0C4186
	v_exp_f32_e32 v135, v135                                   // 000000003CF0: 7F0E4187
	buffer_load_dwordx4 a[104:107], v39, s[20:23], 0 offen     // 000000003CF4: E05C1000 80856827
	v_mul_f32_dpp v240, v252, v128 quad_perm:[0,0,0,0] row_mask:0xf bank_mask:0xf// 000000003CFC: 0BE100FA FF0000FC
	v_mul_f32_dpp v241, v252, v129 quad_perm:[1,1,1,1] row_mask:0xf bank_mask:0xf// 000000003D04: 0BE302FA FF0055FC
	v_mul_f32_dpp v242, v252, v130 quad_perm:[2,2,2,2] row_mask:0xf bank_mask:0xf// 000000003D0C: 0BE504FA FF00AAFC
	v_mul_f32_dpp v243, v252, v131 quad_perm:[3,3,3,3] row_mask:0xf bank_mask:0xf// 000000003D14: 0BE706FA FF00FFFC
	v_mul_f32_dpp v244, v253, v132 quad_perm:[0,0,0,0] row_mask:0xf bank_mask:0xf// 000000003D1C: 0BE908FA FF0000FD
	v_mul_f32_dpp v245, v253, v133 quad_perm:[1,1,1,1] row_mask:0xf bank_mask:0xf// 000000003D24: 0BEB0AFA FF0055FD
	v_mul_f32_dpp v246, v253, v134 quad_perm:[2,2,2,2] row_mask:0xf bank_mask:0xf// 000000003D2C: 0BED0CFA FF00AAFD
	v_mul_f32_dpp v247, v253, v135 quad_perm:[3,3,3,3] row_mask:0xf bank_mask:0xf// 000000003D34: 0BEF0EFA FF00FFFD
	v_mov_b32_e32 v62, 0x358637bd                              // 000000003D3C: 7E7C02FF 358637BD
	v_max3_f32 v62, |v240|, |v241|, v62                        // 000000003D44: D1D3033E 04FBE3F0
	v_max3_f32 v62, |v242|, |v243|, v62                        // 000000003D4C: D1D3033E 04FBE7F2
	v_max3_f32 v62, |v244|, |v245|, v62                        // 000000003D54: D1D3033E 04FBEBF4
	v_max3_f32 v62, |v246|, |v247|, v62                        // 000000003D5C: D1D3033E 04FBEFF6
	buffer_load_dwordx4 a[108:111], v40, s[20:23], 0 offen     // 000000003D64: E05C1000 80856C28
	ds_write_b32 v11, v62 offset:20992                         // 000000003D6C: D81A5200 00003E0B
	v_sub_f32_e32 v63, v14, v18                                // 000000003D74: 047E250E
	v_cndmask_b32_e64 v63, v63, 0, s[40:41]                    // 000000003D78: D100003F 00A1013F
	v_mov_b32_e32 v14, v18                                     // 000000003D80: 7E1C0312
	v_mul_f32_e32 v63, s64, v63                                // 000000003D84: 0A7E7E40
	v_exp_f32_e32 v63, v63                                     // 000000003D88: 7E7E413F
	s_waitcnt lgkmcnt(0)                                       // 000000003D8C: BF8CC07F
	s_barrier                                                  // 000000003D90: BF8A0000
	ds_read_b32 v80, v10 offset:20992                          // 000000003D94: D86C5200 5000000A
	ds_read_b32 v81, v10 offset:21056                          // 000000003D9C: D86C5240 5100000A
	ds_read_b32 v82, v10 offset:21120                          // 000000003DA4: D86C5280 5200000A
	ds_read_b32 v83, v10 offset:21184                          // 000000003DAC: D86C52C0 5300000A
	ds_read_b32 v84, v10 offset:21248                          // 000000003DB4: D86C5300 5400000A
	ds_read_b32 v85, v10 offset:21312                          // 000000003DBC: D86C5340 5500000A
	ds_read_b32 v86, v10 offset:21376                          // 000000003DC4: D86C5380 5600000A
	ds_read_b32 v87, v10 offset:21440                          // 000000003DCC: D86C53C0 5700000A
	ds_read_b32 v88, v10 offset:21504                          // 000000003DD4: D86C5400 5800000A
	ds_read_b32 v89, v10 offset:21568                          // 000000003DDC: D86C5440 5900000A
	ds_read_b32 v90, v10 offset:21632                          // 000000003DE4: D86C5480 5A00000A
	ds_read_b32 v91, v10 offset:21696                          // 000000003DEC: D86C54C0 5B00000A
	ds_read_b32 v92, v10 offset:21760                          // 000000003DF4: D86C5500 5C00000A
	ds_read_b32 v93, v10 offset:21824                          // 000000003DFC: D86C5540 5D00000A
	ds_read_b32 v94, v10 offset:21888                          // 000000003E04: D86C5580 5E00000A
	ds_read_b32 v95, v10 offset:21952                          // 000000003E0C: D86C55C0 5F00000A
	v_mul_f32_e32 v47, v63, v47                                // 000000003E14: 0A5E5F3F
	v_mov_b32_e32 v51, v128                                    // 000000003E18: 7E660380
	v_add_f32_e32 v51, v129, v51                               // 000000003E1C: 02666781
	v_add_f32_e32 v51, v130, v51                               // 000000003E20: 02666782
	v_add_f32_e32 v51, v131, v51                               // 000000003E24: 02666783
	v_add_f32_e32 v51, v132, v51                               // 000000003E28: 02666784
	v_add_f32_e32 v51, v133, v51                               // 000000003E2C: 02666785
	v_add_f32_e32 v51, v134, v51                               // 000000003E30: 02666786
	v_add_f32_e32 v51, v135, v51                               // 000000003E34: 02666787
	v_add_f32_e32 v47, v51, v47                                // 000000003E38: 025E5F33
	s_waitcnt lgkmcnt(0)                                       // 000000003E3C: BF8CC07F
	v_max3_f32 v62, |v80|, |v81|, v62                          // 000000003E40: D1D3033E 04FAA350
	v_max3_f32 v62, |v82|, |v83|, v62                          // 000000003E48: D1D3033E 04FAA752
	v_max3_f32 v62, |v84|, |v85|, v62                          // 000000003E50: D1D3033E 04FAAB54
	v_max3_f32 v62, |v86|, |v87|, v62                          // 000000003E58: D1D3033E 04FAAF56
	v_max3_f32 v62, |v88|, |v89|, v62                          // 000000003E60: D1D3033E 04FAB358
	v_max3_f32 v62, |v90|, |v91|, v62                          // 000000003E68: D1D3033E 04FAB75A
	v_max3_f32 v62, |v92|, |v93|, v62                          // 000000003E70: D1D3033E 04FABB5C
	v_max3_f32 v62, |v94|, |v95|, v62                          // 000000003E78: D1D3033E 04FABF5E
	s_nop 2                                                    // 000000003E80: BF800002
	v_mov_b32_dpp v41, v62 row_ror:8 row_mask:0xf bank_mask:0xf// 000000003E84: 7E5202FA FF01283E
	v_max_f32_e32 v62, v62, v41                                // 000000003E8C: 167C533E
	v_rcp_f32_e32 v62, v62                                     // 000000003E90: 7E7C453E
	s_nop 1                                                    // 000000003E94: BF800001
	v_mul_f32_e32 v62, 0x43e00000, v62                         // 000000003E98: 0A7C7CFF 43E00000
	v_mul_f32_e32 v128, v62, v240                              // 000000003EA0: 0B01E13E
	v_mul_f32_e32 v129, v62, v241                              // 000000003EA4: 0B03E33E
	v_mul_f32_e32 v130, v62, v242                              // 000000003EA8: 0B05E53E
	v_mul_f32_e32 v131, v62, v243                              // 000000003EAC: 0B07E73E
	v_mul_f32_e32 v132, v62, v244                              // 000000003EB0: 0B09E93E
	v_mul_f32_e32 v133, v62, v245                              // 000000003EB4: 0B0BEB3E
	v_mul_f32_e32 v134, v62, v246                              // 000000003EB8: 0B0DED3E
	v_mul_f32_e32 v135, v62, v247                              // 000000003EBC: 0B0FEF3E
	v_cvt_pk_fp8_f32 v128, v128, v129                          // 000000003EC0: D2A20080 00030380
	v_cvt_pk_fp8_f32 v128, v130, v131 op_sel:[0,0,1]           // 000000003EC8: D2A24080 00030782
	v_cvt_pk_fp8_f32 v129, v132, v133                          // 000000003ED0: D2A20081 00030B84
	v_cvt_pk_fp8_f32 v129, v134, v135 op_sel:[0,0,1]           // 000000003ED8: D2A24081 00030F86
	ds_write_b32 v13, v128 offset:25088                        // 000000003EE0: D81A6200 0000800D
	ds_write_b32 v13, v129 offset:26112                        // 000000003EE8: D81A6600 0000810D
	v_mul_f32_e32 v192, v58, v192                              // 000000003EF0: 0B81813A
	v_mul_f32_e32 v193, v58, v193                              // 000000003EF4: 0B83833A
	v_mul_f32_e32 v194, v58, v194                              // 000000003EF8: 0B85853A
	v_mul_f32_e32 v195, v58, v195                              // 000000003EFC: 0B87873A
	v_rcp_f32_e32 v58, v62                                     // 000000003F00: 7E74453E
	s_waitcnt lgkmcnt(0)                                       // 000000003F04: BF8CC07F
	s_barrier                                                  // 000000003F08: BF8A0000
	ds_read_b64 v[128:129], v12 offset:25088                   // 000000003F0C: D8EC6200 8000000C
	ds_read_b64 v[130:131], v12 offset:25216                   // 000000003F14: D8EC6280 8200000C
	ds_read_b64 v[132:133], v12 offset:26112                   // 000000003F1C: D8EC6600 8400000C
	ds_read_b64 v[134:135], v12 offset:26240                   // 000000003F24: D8EC6680 8600000C
	v_add_f32_e32 v224, v224, v192                             // 000000003F2C: 03C181E0
	v_add_f32_e32 v225, v225, v193                             // 000000003F30: 03C383E1
	v_add_f32_e32 v226, v226, v194                             // 000000003F34: 03C585E2
	v_add_f32_e32 v227, v227, v195                             // 000000003F38: 03C787E3
	s_waitcnt lgkmcnt(3)                                       // 000000003F3C: BF8CC37F
	v_mov_b32_dpp v136, v128 row_shl:8 row_mask:0xf bank_mask:0xf bound_ctrl:1// 000000003F40: 7F1002FA FF090880
	v_and_b32_e32 v128, v128, v9                               // 000000003F48: 27001380
	v_mov_b32_dpp v137, v129 row_shl:8 row_mask:0xf bank_mask:0xf bound_ctrl:1// 000000003F4C: 7F1202FA FF090881
	v_and_b32_e32 v129, v129, v9                               // 000000003F54: 27021381
	s_waitcnt lgkmcnt(2)                                       // 000000003F58: BF8CC27F
	v_mov_b32_dpp v138, v130 row_shl:8 row_mask:0xf bank_mask:0xf bound_ctrl:1// 000000003F5C: 7F1402FA FF090882
	v_and_b32_e32 v130, v130, v9                               // 000000003F64: 27041382
	v_mov_b32_dpp v139, v131 row_shl:8 row_mask:0xf bank_mask:0xf bound_ctrl:1// 000000003F68: 7F1602FA FF090883
	v_and_b32_e32 v131, v131, v9                               // 000000003F70: 27061383
	s_waitcnt lgkmcnt(1)                                       // 000000003F74: BF8CC17F
	v_mov_b32_dpp v140, v132 row_shl:8 row_mask:0xf bank_mask:0xf bound_ctrl:1// 000000003F78: 7F1802FA FF090884
	v_and_b32_e32 v132, v132, v9                               // 000000003F80: 27081384
	v_mov_b32_dpp v141, v133 row_shl:8 row_mask:0xf bank_mask:0xf bound_ctrl:1// 000000003F84: 7F1A02FA FF090885
	v_and_b32_e32 v133, v133, v9                               // 000000003F8C: 270A1385
	s_waitcnt lgkmcnt(0)                                       // 000000003F90: BF8CC07F
	v_mov_b32_dpp v142, v134 row_shl:8 row_mask:0xf bank_mask:0xf bound_ctrl:1// 000000003F94: 7F1C02FA FF090886
	v_and_b32_e32 v134, v134, v9                               // 000000003F9C: 270C1386
	v_mov_b32_dpp v143, v135 row_shl:8 row_mask:0xf bank_mask:0xf bound_ctrl:1// 000000003FA0: 7F1E02FA FF090887
	v_and_b32_e32 v135, v135, v9                               // 000000003FA8: 270E1387
	s_waitcnt vmcnt(15)                                        // 000000003FAC: BF8C0F7F
	v_mfma_f32_16x16x32_fp8_fp8 v[192:195], a[64:65], v[128:129], 0// 000000003FB0: D3F300C0 0A030140
	buffer_load_dwordx4 a[112:115], v37, s[20:23], 0 offen offset:1024// 000000003FB8: E05C1400 80857025
	v_mfma_f32_16x16x32_fp8_fp8 v[192:195], a[66:67], v[130:131], v[192:195]// 000000003FC0: D3F300C0 0F030542
	v_mfma_f32_16x16x32_fp8_fp8 v[192:195], a[68:69], v[132:133], v[192:195]// 000000003FC8: D3F300C0 0F030944
	v_mfma_f32_16x16x32_fp8_fp8 v[192:195], a[70:71], v[134:135], v[192:195]// 000000003FD0: D3F300C0 0F030D46
	v_mfma_f32_16x16x32_fp8_fp8 v[192:195], a[72:73], v[136:137], v[192:195]// 000000003FD8: D3F300C0 0F031148
	buffer_load_dwordx4 a[116:119], v38, s[20:23], 0 offen offset:1024// 000000003FE0: E05C1400 80857426
	v_mfma_f32_16x16x32_fp8_fp8 v[192:195], a[74:75], v[138:139], v[192:195]// 000000003FE8: D3F300C0 0F03154A
	v_mfma_f32_16x16x32_fp8_fp8 v[192:195], a[76:77], v[140:141], v[192:195]// 000000003FF0: D3F300C0 0F03194C
	v_mfma_f32_16x16x32_fp8_fp8 v[192:195], a[78:79], v[142:143], v[192:195]// 000000003FF8: D3F300C0 0F031D4E
	v_mfma_f32_16x16x32_fp8_fp8 v[196:199], a[80:81], v[128:129], 0// 000000004000: D3F300C4 0A030150
	buffer_load_dwordx4 a[120:123], v39, s[20:23], 0 offen offset:1024// 000000004008: E05C1400 80857827
	v_mfma_f32_16x16x32_fp8_fp8 v[196:199], a[82:83], v[130:131], v[196:199]// 000000004010: D3F300C4 0F130552
	v_mfma_f32_16x16x32_fp8_fp8 v[196:199], a[84:85], v[132:133], v[196:199]// 000000004018: D3F300C4 0F130954
	v_mfma_f32_16x16x32_fp8_fp8 v[196:199], a[86:87], v[134:135], v[196:199]// 000000004020: D3F300C4 0F130D56
	v_mfma_f32_16x16x32_fp8_fp8 v[196:199], a[88:89], v[136:137], v[196:199]// 000000004028: D3F300C4 0F131158
	buffer_load_dwordx4 a[124:127], v40, s[20:23], 0 offen offset:1024// 000000004030: E05C1400 80857C28
	v_mfma_f32_16x16x32_fp8_fp8 v[196:199], a[90:91], v[138:139], v[196:199]// 000000004038: D3F300C4 0F13155A
	v_mfma_f32_16x16x32_fp8_fp8 v[196:199], a[92:93], v[140:141], v[196:199]// 000000004040: D3F300C4 0F13195C
	s_lshr_b32 s57, s70, 4                                     // 000000004048: 8F398446
	s_add_u32 s57, 48, s57                                     // 00000000404C: 803939B0
	v_mfma_f32_16x16x32_fp8_fp8 v[196:199], a[94:95], v[142:143], v[196:199]// 000000004050: D3F300C4 0F131D5E
	s_cmp_ge_u32 s57, s73                                      // 000000004058: BF094939
	s_cselect_b32 s56, 0, s56                                  // 00000000405C: 85383880
	v_add_u32_e32 v1, s56, v1                                  // 000000004060: 68020238
	s_addk_i32 s70, 0x100                                      // 000000004064: B7460100
	s_cmp_lt_i32 s70, s71                                      // 000000004068: BF044746
	s_cbranch_scc0 label_05BF                                  // 00000000406C: BF84FE23
	s_waitcnt vmcnt(8) lgkmcnt(0)                              // 000000004070: BF8C0078
	v_mul_u32_u24_dpp v41, v19, v68 row_newbcast:0 row_mask:0xf bank_mask:0xf// 000000004074: 105288FA FF015013
	v_mul_u32_u24_dpp v42, v19, v68 row_newbcast:4 row_mask:0xf bank_mask:0xf// 00000000407C: 105488FA FF015413
	v_mul_u32_u24_dpp v43, v19, v68 row_newbcast:8 row_mask:0xf bank_mask:0xf// 000000004084: 105688FA FF015813
	v_mul_u32_u24_dpp v44, v19, v68 row_newbcast:12 row_mask:0xf bank_mask:0xf// 00000000408C: 105888FA FF015C13
	v_add_u32_e32 v25, v41, v6                                 // 000000004094: 68320D29
	v_add_u32_e32 v26, v42, v6                                 // 000000004098: 68340D2A
	v_add_u32_e32 v27, v43, v6                                 // 00000000409C: 68360D2B
	v_add_u32_e32 v28, v44, v6                                 // 0000000040A0: 68380D2C
	v_mul_u32_u24_dpp v41, v19, v78 quad_perm:[0,0,0,0] row_mask:0xf bank_mask:0xf// 0000000040A4: 10529CFA FF000013
	v_add_u32_e32 v2, v41, v74                                 // 0000000040AC: 68049529
	v_mul_u32_u24_dpp v41, v19, v78 quad_perm:[0,0,0,0] row_mask:0xf bank_mask:0xf// 0000000040B0: 10529CFA FF000013
	v_add_u32_e32 v70, v41, v75                                // 0000000040B8: 688C9729
	v_mfma_f32_16x16x32_fp8_fp8 v[128:131], a[32:33], v[96:97], 0// 0000000040BC: D3F30080 0A02C120
	buffer_load_dwordx4 a[0:3], v25, s[16:19], 0 offen         // 0000000040C4: E05C1000 80840019
	v_mfma_f32_16x16x32_fp8_fp8 v[128:131], a[34:35], v[98:99], v[128:131]// 0000000040CC: D3F30080 0E02C522
	v_mfma_f32_16x16x32_fp8_fp8 v[128:131], a[36:37], v[100:101], v[128:131]// 0000000040D4: D3F30080 0E02C924
	buffer_load_dword v20, v1, s[24:27], 0 offen               // 0000000040DC: E0501000 80061401
	v_mfma_f32_16x16x32_fp8_fp8 v[128:131], a[38:39], v[102:103], v[128:131]// 0000000040E4: D3F30080 0E02CD26
	v_mfma_f32_16x16x32_fp8_fp8 v[132:135], a[40:41], v[96:97], 0// 0000000040EC: D3F30084 0A02C128
	buffer_load_dwordx4 a[4:7], v25, s[16:19], 0 offen offset:1024// 0000000040F4: E05C1400 80840419
	v_mfma_f32_16x16x32_fp8_fp8 v[132:135], a[42:43], v[98:99], v[132:135]// 0000000040FC: D3F30084 0E12C52A
	v_mfma_f32_16x16x32_fp8_fp8 v[132:135], a[44:45], v[100:101], v[132:135]// 000000004104: D3F30084 0E12C92C
	v_mfma_f32_16x16x32_fp8_fp8 v[132:135], a[46:47], v[102:103], v[132:135]// 00000000410C: D3F30084 0E12CD2E
	v_mfma_f32_16x16x32_fp8_fp8 v[136:139], a[48:49], v[96:97], 0// 000000004114: D3F30088 0A02C130
	buffer_load_dwordx4 a[8:11], v26, s[16:19], 0 offen        // 00000000411C: E05C1000 8084081A
	v_mfma_f32_16x16x32_fp8_fp8 v[136:139], a[50:51], v[98:99], v[136:139]// 000000004124: D3F30088 0E22C532
	v_mfma_f32_16x16x32_fp8_fp8 v[136:139], a[52:53], v[100:101], v[136:139]// 00000000412C: D3F30088 0E22C934
	v_mfma_f32_16x16x32_fp8_fp8 v[136:139], a[54:55], v[102:103], v[136:139]// 000000004134: D3F30088 0E22CD36
	v_mfma_f32_16x16x32_fp8_fp8 v[140:143], a[56:57], v[96:97], 0// 00000000413C: D3F3008C 0A02C138
	buffer_load_dwordx4 a[12:15], v26, s[16:19], 0 offen offset:1024// 000000004144: E05C1400 80840C1A
	v_mfma_f32_16x16x32_fp8_fp8 v[140:143], a[58:59], v[98:99], v[140:143]// 00000000414C: D3F3008C 0E32C53A
	v_mfma_f32_16x16x32_fp8_fp8 v[140:143], a[60:61], v[100:101], v[140:143]// 000000004154: D3F3008C 0E32C93C
	v_mfma_f32_16x16x32_fp8_fp8 v[140:143], a[62:63], v[102:103], v[140:143]// 00000000415C: D3F3008C 0E32CD3E
	buffer_load_dword v52, v2, s[32:35], 0 offen               // 000000004164: E0501000 80083402
	v_mov_b32_dpp v41, v53 row_shr:4 row_mask:0xf bank_mask:0xf// 00000000416C: 7E5202FA FF011435
	v_mov_b32_dpp v42, v53 row_shl:4 row_mask:0xf bank_mask:0xf// 000000004174: 7E5402FA FF010435
	v_cndmask_b32_e64 v248, v53, v41, s[44:45]                 // 00000000417C: D10000F8 00B25335
	v_cndmask_b32_e64 v249, v42, v53, s[44:45]                 // 000000004184: D10000F9 00B26B2A
	v_mov_b32_dpp v41, v73 row_shr:4 row_mask:0xf bank_mask:0xf// 00000000418C: 7E5202FA FF011449
	v_mov_b32_dpp v42, v73 row_shl:4 row_mask:0xf bank_mask:0xf// 000000004194: 7E5402FA FF010449
	v_cndmask_b32_e64 v252, v73, v41, s[44:45]                 // 00000000419C: D10000FC 00B25349
	v_cndmask_b32_e64 v253, v42, v73, s[44:45]                 // 0000000041A4: D10000FD 00B2932A
	v_or_b32_dpp v128, v136, v128 row_shr:8 row_mask:0xf bank_mask:0xf bound_ctrl:1// 0000000041AC: 290100FA FF091888
	v_or_b32_dpp v129, v137, v129 row_shr:8 row_mask:0xf bank_mask:0xf bound_ctrl:1// 0000000041B4: 290302FA FF091889
	v_or_b32_dpp v130, v138, v130 row_shr:8 row_mask:0xf bank_mask:0xf bound_ctrl:1// 0000000041BC: 290504FA FF09188A
	v_or_b32_dpp v131, v139, v131 row_shr:8 row_mask:0xf bank_mask:0xf bound_ctrl:1// 0000000041C4: 290706FA FF09188B
	v_or_b32_dpp v132, v140, v132 row_shr:8 row_mask:0xf bank_mask:0xf bound_ctrl:1// 0000000041CC: 290908FA FF09188C
	v_or_b32_dpp v133, v141, v133 row_shr:8 row_mask:0xf bank_mask:0xf bound_ctrl:1// 0000000041D4: 290B0AFA FF09188D
	v_or_b32_dpp v134, v142, v134 row_shr:8 row_mask:0xf bank_mask:0xf bound_ctrl:1// 0000000041DC: 290D0CFA FF09188E
	v_or_b32_dpp v135, v143, v135 row_shr:8 row_mask:0xf bank_mask:0xf bound_ctrl:1// 0000000041E4: 290F0EFA FF09188F
	buffer_load_dword v72, v70, s[36:39], 0 offen              // 0000000041EC: E0501000 80094846
	v_mul_f32_e32 v128, v54, v128                              // 0000000041F4: 0B010136
	v_mul_f32_e32 v129, v54, v129                              // 0000000041F8: 0B030336
	v_mul_f32_e32 v130, v54, v130                              // 0000000041FC: 0B050536
	v_mul_f32_e32 v131, v54, v131                              // 000000004200: 0B070736
	v_mul_f32_e32 v132, v54, v132                              // 000000004204: 0B090936
	v_mul_f32_e32 v133, v54, v133                              // 000000004208: 0B0B0B36
	v_mul_f32_e32 v134, v54, v134                              // 00000000420C: 0B0D0D36
	v_mul_f32_e32 v135, v54, v135                              // 000000004210: 0B0F0F36
	buffer_load_dwordx4 a[16:19], v27, s[16:19], 0 offen       // 000000004214: E05C1000 8084101B
	v_mul_f32_dpp v128, v248, v128 quad_perm:[0,0,0,0] row_mask:0xf bank_mask:0xf// 00000000421C: 0B0100FA FF0000F8
	v_mul_f32_dpp v129, v248, v129 quad_perm:[1,1,1,1] row_mask:0xf bank_mask:0xf// 000000004224: 0B0302FA FF0055F8
	v_mul_f32_dpp v130, v248, v130 quad_perm:[2,2,2,2] row_mask:0xf bank_mask:0xf// 00000000422C: 0B0504FA FF00AAF8
	v_mul_f32_dpp v131, v248, v131 quad_perm:[3,3,3,3] row_mask:0xf bank_mask:0xf// 000000004234: 0B0706FA FF00FFF8
	v_mul_f32_dpp v132, v249, v132 quad_perm:[0,0,0,0] row_mask:0xf bank_mask:0xf// 00000000423C: 0B0908FA FF0000F9
	v_mul_f32_dpp v133, v249, v133 quad_perm:[1,1,1,1] row_mask:0xf bank_mask:0xf// 000000004244: 0B0B0AFA FF0055F9
	v_mul_f32_dpp v134, v249, v134 quad_perm:[2,2,2,2] row_mask:0xf bank_mask:0xf// 00000000424C: 0B0D0CFA FF00AAF9
	v_mul_f32_dpp v135, v249, v135 quad_perm:[3,3,3,3] row_mask:0xf bank_mask:0xf// 000000004254: 0B0F0EFA FF00FFF9
	buffer_load_dwordx4 a[20:23], v27, s[16:19], 0 offen offset:1024// 00000000425C: E05C1400 8084141B
	v_mov_b32_e32 v62, v128                                    // 000000004264: 7E7C0380
	v_max3_f32 v62, v128, v129, v62                            // 000000004268: D1D3003E 04FB0380
	v_max3_f32 v62, v130, v131, v62                            // 000000004270: D1D3003E 04FB0782
	v_max3_f32 v62, v132, v133, v62                            // 000000004278: D1D3003E 04FB0B84
	v_max3_f32 v62, v134, v135, v62                            // 000000004280: D1D3003E 04FB0F86
	ds_write_b32 v11, v62 offset:16896                         // 000000004288: D81A4200 00003E0B
	buffer_load_dwordx4 a[24:27], v28, s[16:19], 0 offen       // 000000004290: E05C1000 8084181C
	v_mul_u32_u24_dpp v41, v19, v68 row_newbcast:1 row_mask:0xf bank_mask:0xf// 000000004298: 105288FA FF015113
	v_mul_u32_u24_dpp v42, v19, v68 row_newbcast:5 row_mask:0xf bank_mask:0xf// 0000000042A0: 105488FA FF015513
	v_mul_u32_u24_dpp v43, v19, v68 row_newbcast:9 row_mask:0xf bank_mask:0xf// 0000000042A8: 105688FA FF015913
	v_mul_u32_u24_dpp v44, v19, v68 row_newbcast:13 row_mask:0xf bank_mask:0xf// 0000000042B0: 105888FA FF015D13
	v_add_u32_e32 v33, v41, v7                                 // 0000000042B8: 68420F29
	v_add_u32_e32 v34, v42, v7                                 // 0000000042BC: 68440F2A
	v_add_u32_e32 v35, v43, v7                                 // 0000000042C0: 68460F2B
	v_add_u32_e32 v36, v44, v7                                 // 0000000042C4: 68480F2C
	s_waitcnt lgkmcnt(0)                                       // 0000000042C8: BF8CC07F
	s_barrier                                                  // 0000000042CC: BF8A0000
	ds_read_b32 v80, v10 offset:16896                          // 0000000042D0: D86C4200 5000000A
	ds_read_b32 v81, v10 offset:16960                          // 0000000042D8: D86C4240 5100000A
	ds_read_b32 v82, v10 offset:17024                          // 0000000042E0: D86C4280 5200000A
	ds_read_b32 v83, v10 offset:17088                          // 0000000042E8: D86C42C0 5300000A
	ds_read_b32 v84, v10 offset:17152                          // 0000000042F0: D86C4300 5400000A
	ds_read_b32 v85, v10 offset:17216                          // 0000000042F8: D86C4340 5500000A
	ds_read_b32 v86, v10 offset:17280                          // 000000004300: D86C4380 5600000A
	ds_read_b32 v87, v10 offset:17344                          // 000000004308: D86C43C0 5700000A
	ds_read_b32 v88, v10 offset:17408                          // 000000004310: D86C4400 5800000A
	ds_read_b32 v89, v10 offset:17472                          // 000000004318: D86C4440 5900000A
	ds_read_b32 v90, v10 offset:17536                          // 000000004320: D86C4480 5A00000A
	ds_read_b32 v91, v10 offset:17600                          // 000000004328: D86C44C0 5B00000A
	ds_read_b32 v92, v10 offset:17664                          // 000000004330: D86C4500 5C00000A
	ds_read_b32 v93, v10 offset:17728                          // 000000004338: D86C4540 5D00000A
	ds_read_b32 v94, v10 offset:17792                          // 000000004340: D86C4580 5E00000A
	ds_read_b32 v95, v10 offset:17856                          // 000000004348: D86C45C0 5F00000A
	buffer_load_dwordx4 a[28:31], v28, s[16:19], 0 offen offset:1024// 000000004350: E05C1400 80841C1C
	v_mul_f32_e32 v224, v63, v224                              // 000000004358: 0BC1C13F
	v_mul_f32_e32 v225, v63, v225                              // 00000000435C: 0BC3C33F
	v_mul_f32_e32 v226, v63, v226                              // 000000004360: 0BC5C53F
	v_mul_f32_e32 v227, v63, v227                              // 000000004364: 0BC7C73F
	v_or_b32_dpp v192, v196, v192 row_shr:8 row_mask:0xf bank_mask:0xf bound_ctrl:1// 000000004368: 298180FA FF0918C4
	v_or_b32_dpp v193, v197, v193 row_shr:8 row_mask:0xf bank_mask:0xf bound_ctrl:1// 000000004370: 298382FA FF0918C5
	v_or_b32_dpp v194, v198, v194 row_shr:8 row_mask:0xf bank_mask:0xf bound_ctrl:1// 000000004378: 298584FA FF0918C6
	v_or_b32_dpp v195, v199, v195 row_shr:8 row_mask:0xf bank_mask:0xf bound_ctrl:1// 000000004380: 298786FA FF0918C7
	s_waitcnt lgkmcnt(0)                                       // 000000004388: BF8CC07F
	v_max3_f32 v62, v80, v81, v62                              // 00000000438C: D1D3003E 04FAA350
	v_max3_f32 v62, v82, v83, v62                              // 000000004394: D1D3003E 04FAA752
	v_max3_f32 v62, v84, v85, v62                              // 00000000439C: D1D3003E 04FAAB54
	v_max3_f32 v62, v86, v87, v62                              // 0000000043A4: D1D3003E 04FAAF56
	v_max3_f32 v62, v88, v89, v62                              // 0000000043AC: D1D3003E 04FAB358
	v_max3_f32 v62, v90, v91, v62                              // 0000000043B4: D1D3003E 04FAB75A
	v_max3_f32 v62, v92, v93, v62                              // 0000000043BC: D1D3003E 04FABB5C
	v_max3_f32 v62, v94, v95, v62                              // 0000000043C4: D1D3003E 04FABF5E
	buffer_load_dwordx4 a[64:67], v33, s[20:23], 0 offen       // 0000000043CC: E05C1000 80854021
	v_cmp_eq_u32_e64 s[40:41], v69, v14                        // 0000000043D4: D0CA0028 00021D45
	s_nop 1                                                    // 0000000043DC: BF800001
	v_mov_b32_dpp v41, v62 row_ror:8 row_mask:0xf bank_mask:0xf// 0000000043E0: 7E5202FA FF01283E
	v_max_f32_e32 v62, v62, v41                                // 0000000043E8: 167C533E
	v_max_f32_e32 v18, v62, v14                                // 0000000043EC: 16241D3E
	v_mul_f32_e32 v67, s64, v18                                // 0000000043F0: 0A862440
	v_fma_f32 v128, v128, s64, -v67                            // 0000000043F4: D1CB0080 850C8180
	v_fma_f32 v129, v129, s64, -v67                            // 0000000043FC: D1CB0081 850C8181
	v_fma_f32 v130, v130, s64, -v67                            // 000000004404: D1CB0082 850C8182
	v_fma_f32 v131, v131, s64, -v67                            // 00000000440C: D1CB0083 850C8183
	v_fma_f32 v132, v132, s64, -v67                            // 000000004414: D1CB0084 850C8184
	v_fma_f32 v133, v133, s64, -v67                            // 00000000441C: D1CB0085 850C8185
	v_fma_f32 v134, v134, s64, -v67                            // 000000004424: D1CB0086 850C8186
	v_fma_f32 v135, v135, s64, -v67                            // 00000000442C: D1CB0087 850C8187
	buffer_load_dwordx4 a[68:71], v34, s[20:23], 0 offen       // 000000004434: E05C1000 80854422
	v_exp_f32_e32 v128, v128                                   // 00000000443C: 7F004180
	v_exp_f32_e32 v129, v129                                   // 000000004440: 7F024181
	v_exp_f32_e32 v130, v130                                   // 000000004444: 7F044182
	v_exp_f32_e32 v131, v131                                   // 000000004448: 7F064183
	v_exp_f32_e32 v132, v132                                   // 00000000444C: 7F084184
	v_exp_f32_e32 v133, v133                                   // 000000004450: 7F0A4185
	v_exp_f32_e32 v134, v134                                   // 000000004454: 7F0C4186
	v_exp_f32_e32 v135, v135                                   // 000000004458: 7F0E4187
	buffer_load_dwordx4 a[72:75], v35, s[20:23], 0 offen       // 00000000445C: E05C1000 80854823
	v_mul_f32_dpp v240, v252, v128 quad_perm:[0,0,0,0] row_mask:0xf bank_mask:0xf// 000000004464: 0BE100FA FF0000FC
	v_mul_f32_dpp v241, v252, v129 quad_perm:[1,1,1,1] row_mask:0xf bank_mask:0xf// 00000000446C: 0BE302FA FF0055FC
	v_mul_f32_dpp v242, v252, v130 quad_perm:[2,2,2,2] row_mask:0xf bank_mask:0xf// 000000004474: 0BE504FA FF00AAFC
	v_mul_f32_dpp v243, v252, v131 quad_perm:[3,3,3,3] row_mask:0xf bank_mask:0xf// 00000000447C: 0BE706FA FF00FFFC
	v_mul_f32_dpp v244, v253, v132 quad_perm:[0,0,0,0] row_mask:0xf bank_mask:0xf// 000000004484: 0BE908FA FF0000FD
	v_mul_f32_dpp v245, v253, v133 quad_perm:[1,1,1,1] row_mask:0xf bank_mask:0xf// 00000000448C: 0BEB0AFA FF0055FD
	v_mul_f32_dpp v246, v253, v134 quad_perm:[2,2,2,2] row_mask:0xf bank_mask:0xf// 000000004494: 0BED0CFA FF00AAFD
	v_mul_f32_dpp v247, v253, v135 quad_perm:[3,3,3,3] row_mask:0xf bank_mask:0xf// 00000000449C: 0BEF0EFA FF00FFFD
	v_mov_b32_e32 v62, 0x358637bd                              // 0000000044A4: 7E7C02FF 358637BD
	v_max3_f32 v62, |v240|, |v241|, v62                        // 0000000044AC: D1D3033E 04FBE3F0
	v_max3_f32 v62, |v242|, |v243|, v62                        // 0000000044B4: D1D3033E 04FBE7F2
	v_max3_f32 v62, |v244|, |v245|, v62                        // 0000000044BC: D1D3033E 04FBEBF4
	v_max3_f32 v62, |v246|, |v247|, v62                        // 0000000044C4: D1D3033E 04FBEFF6
	buffer_load_dwordx4 a[76:79], v36, s[20:23], 0 offen       // 0000000044CC: E05C1000 80854C24
	ds_write_b32 v11, v62 offset:20992                         // 0000000044D4: D81A5200 00003E0B
	v_sub_f32_e32 v63, v14, v18                                // 0000000044DC: 047E250E
	v_cndmask_b32_e64 v63, v63, 0, s[40:41]                    // 0000000044E0: D100003F 00A1013F
	v_mov_b32_e32 v14, v18                                     // 0000000044E8: 7E1C0312
	v_mul_f32_e32 v63, s64, v63                                // 0000000044EC: 0A7E7E40
	v_exp_f32_e32 v63, v63                                     // 0000000044F0: 7E7E413F
	s_waitcnt lgkmcnt(0)                                       // 0000000044F4: BF8CC07F
	s_barrier                                                  // 0000000044F8: BF8A0000
	ds_read_b32 v80, v10 offset:20992                          // 0000000044FC: D86C5200 5000000A
	ds_read_b32 v81, v10 offset:21056                          // 000000004504: D86C5240 5100000A
	ds_read_b32 v82, v10 offset:21120                          // 00000000450C: D86C5280 5200000A
	ds_read_b32 v83, v10 offset:21184                          // 000000004514: D86C52C0 5300000A
	ds_read_b32 v84, v10 offset:21248                          // 00000000451C: D86C5300 5400000A
	ds_read_b32 v85, v10 offset:21312                          // 000000004524: D86C5340 5500000A
	ds_read_b32 v86, v10 offset:21376                          // 00000000452C: D86C5380 5600000A
	ds_read_b32 v87, v10 offset:21440                          // 000000004534: D86C53C0 5700000A
	ds_read_b32 v88, v10 offset:21504                          // 00000000453C: D86C5400 5800000A
	ds_read_b32 v89, v10 offset:21568                          // 000000004544: D86C5440 5900000A
	ds_read_b32 v90, v10 offset:21632                          // 00000000454C: D86C5480 5A00000A
	ds_read_b32 v91, v10 offset:21696                          // 000000004554: D86C54C0 5B00000A
	ds_read_b32 v92, v10 offset:21760                          // 00000000455C: D86C5500 5C00000A
	ds_read_b32 v93, v10 offset:21824                          // 000000004564: D86C5540 5D00000A
	ds_read_b32 v94, v10 offset:21888                          // 00000000456C: D86C5580 5E00000A
	ds_read_b32 v95, v10 offset:21952                          // 000000004574: D86C55C0 5F00000A
	v_mul_f32_e32 v47, v63, v47                                // 00000000457C: 0A5E5F3F
	v_mov_b32_e32 v51, v128                                    // 000000004580: 7E660380
	v_add_f32_e32 v51, v129, v51                               // 000000004584: 02666781
	v_add_f32_e32 v51, v130, v51                               // 000000004588: 02666782
	v_add_f32_e32 v51, v131, v51                               // 00000000458C: 02666783
	v_add_f32_e32 v51, v132, v51                               // 000000004590: 02666784
	v_add_f32_e32 v51, v133, v51                               // 000000004594: 02666785
	;; [unrolled: 1-line block ×3, first 2 shown]
	v_add_f32_e32 v51, v135, v51                               // 00000000459C: 02666787
	v_add_f32_e32 v47, v51, v47                                // 0000000045A0: 025E5F33
	s_waitcnt lgkmcnt(0)                                       // 0000000045A4: BF8CC07F
	v_max3_f32 v62, |v80|, |v81|, v62                          // 0000000045A8: D1D3033E 04FAA350
	v_max3_f32 v62, |v82|, |v83|, v62                          // 0000000045B0: D1D3033E 04FAA752
	v_max3_f32 v62, |v84|, |v85|, v62                          // 0000000045B8: D1D3033E 04FAAB54
	v_max3_f32 v62, |v86|, |v87|, v62                          // 0000000045C0: D1D3033E 04FAAF56
	v_max3_f32 v62, |v88|, |v89|, v62                          // 0000000045C8: D1D3033E 04FAB358
	v_max3_f32 v62, |v90|, |v91|, v62                          // 0000000045D0: D1D3033E 04FAB75A
	v_max3_f32 v62, |v92|, |v93|, v62                          // 0000000045D8: D1D3033E 04FABB5C
	v_max3_f32 v62, |v94|, |v95|, v62                          // 0000000045E0: D1D3033E 04FABF5E
	s_nop 2                                                    // 0000000045E8: BF800002
	v_mov_b32_dpp v41, v62 row_ror:8 row_mask:0xf bank_mask:0xf// 0000000045EC: 7E5202FA FF01283E
	v_max_f32_e32 v62, v62, v41                                // 0000000045F4: 167C533E
	v_rcp_f32_e32 v62, v62                                     // 0000000045F8: 7E7C453E
	s_nop 1                                                    // 0000000045FC: BF800001
	v_mul_f32_e32 v62, 0x43e00000, v62                         // 000000004600: 0A7C7CFF 43E00000
	v_mul_f32_e32 v128, v62, v240                              // 000000004608: 0B01E13E
	v_mul_f32_e32 v129, v62, v241                              // 00000000460C: 0B03E33E
	v_mul_f32_e32 v130, v62, v242                              // 000000004610: 0B05E53E
	v_mul_f32_e32 v131, v62, v243                              // 000000004614: 0B07E73E
	v_mul_f32_e32 v132, v62, v244                              // 000000004618: 0B09E93E
	v_mul_f32_e32 v133, v62, v245                              // 00000000461C: 0B0BEB3E
	v_mul_f32_e32 v134, v62, v246                              // 000000004620: 0B0DED3E
	v_mul_f32_e32 v135, v62, v247                              // 000000004624: 0B0FEF3E
	v_cvt_pk_fp8_f32 v128, v128, v129                          // 000000004628: D2A20080 00030380
	v_cvt_pk_fp8_f32 v128, v130, v131 op_sel:[0,0,1]           // 000000004630: D2A24080 00030782
	v_cvt_pk_fp8_f32 v129, v132, v133                          // 000000004638: D2A20081 00030B84
	v_cvt_pk_fp8_f32 v129, v134, v135 op_sel:[0,0,1]           // 000000004640: D2A24081 00030F86
	ds_write_b32 v13, v128 offset:25088                        // 000000004648: D81A6200 0000800D
	ds_write_b32 v13, v129 offset:26112                        // 000000004650: D81A6600 0000810D
	v_mul_f32_e32 v192, v58, v192                              // 000000004658: 0B81813A
	v_mul_f32_e32 v193, v58, v193                              // 00000000465C: 0B83833A
	v_mul_f32_e32 v194, v58, v194                              // 000000004660: 0B85853A
	v_mul_f32_e32 v195, v58, v195                              // 000000004664: 0B87873A
	v_rcp_f32_e32 v58, v62                                     // 000000004668: 7E74453E
	s_waitcnt lgkmcnt(0)                                       // 00000000466C: BF8CC07F
	s_barrier                                                  // 000000004670: BF8A0000
	ds_read_b64 v[128:129], v12 offset:25088                   // 000000004674: D8EC6200 8000000C
	ds_read_b64 v[130:131], v12 offset:25216                   // 00000000467C: D8EC6280 8200000C
	ds_read_b64 v[132:133], v12 offset:26112                   // 000000004684: D8EC6600 8400000C
	ds_read_b64 v[134:135], v12 offset:26240                   // 00000000468C: D8EC6680 8600000C
	v_add_f32_e32 v224, v224, v192                             // 000000004694: 03C181E0
	v_add_f32_e32 v225, v225, v193                             // 000000004698: 03C383E1
	v_add_f32_e32 v226, v226, v194                             // 00000000469C: 03C585E2
	v_add_f32_e32 v227, v227, v195                             // 0000000046A0: 03C787E3
	s_waitcnt lgkmcnt(3)                                       // 0000000046A4: BF8CC37F
	v_mov_b32_dpp v136, v128 row_shl:8 row_mask:0xf bank_mask:0xf bound_ctrl:1// 0000000046A8: 7F1002FA FF090880
	v_and_b32_e32 v128, v128, v9                               // 0000000046B0: 27001380
	v_mov_b32_dpp v137, v129 row_shl:8 row_mask:0xf bank_mask:0xf bound_ctrl:1// 0000000046B4: 7F1202FA FF090881
	v_and_b32_e32 v129, v129, v9                               // 0000000046BC: 27021381
	s_waitcnt lgkmcnt(2)                                       // 0000000046C0: BF8CC27F
	v_mov_b32_dpp v138, v130 row_shl:8 row_mask:0xf bank_mask:0xf bound_ctrl:1// 0000000046C4: 7F1402FA FF090882
	v_and_b32_e32 v130, v130, v9                               // 0000000046CC: 27041382
	v_mov_b32_dpp v139, v131 row_shl:8 row_mask:0xf bank_mask:0xf bound_ctrl:1// 0000000046D0: 7F1602FA FF090883
	v_and_b32_e32 v131, v131, v9                               // 0000000046D8: 27061383
	s_waitcnt lgkmcnt(1)                                       // 0000000046DC: BF8CC17F
	v_mov_b32_dpp v140, v132 row_shl:8 row_mask:0xf bank_mask:0xf bound_ctrl:1// 0000000046E0: 7F1802FA FF090884
	v_and_b32_e32 v132, v132, v9                               // 0000000046E8: 27081384
	v_mov_b32_dpp v141, v133 row_shl:8 row_mask:0xf bank_mask:0xf bound_ctrl:1// 0000000046EC: 7F1A02FA FF090885
	v_and_b32_e32 v133, v133, v9                               // 0000000046F4: 270A1385
	s_waitcnt lgkmcnt(0)                                       // 0000000046F8: BF8CC07F
	v_mov_b32_dpp v142, v134 row_shl:8 row_mask:0xf bank_mask:0xf bound_ctrl:1// 0000000046FC: 7F1C02FA FF090886
	v_and_b32_e32 v134, v134, v9                               // 000000004704: 270C1386
	v_mov_b32_dpp v143, v135 row_shl:8 row_mask:0xf bank_mask:0xf bound_ctrl:1// 000000004708: 7F1E02FA FF090887
	v_and_b32_e32 v135, v135, v9                               // 000000004710: 270E1387
	s_waitcnt vmcnt(15)                                        // 000000004714: BF8C0F7F
	v_mfma_f32_16x16x32_fp8_fp8 v[192:195], a[96:97], v[128:129], 0// 000000004718: D3F300C0 0A030160
	buffer_load_dwordx4 a[80:83], v33, s[20:23], 0 offen offset:1024// 000000004720: E05C1400 80855021
	v_mfma_f32_16x16x32_fp8_fp8 v[192:195], a[98:99], v[130:131], v[192:195]// 000000004728: D3F300C0 0F030562
	v_mfma_f32_16x16x32_fp8_fp8 v[192:195], a[100:101], v[132:133], v[192:195]// 000000004730: D3F300C0 0F030964
	v_mfma_f32_16x16x32_fp8_fp8 v[192:195], a[102:103], v[134:135], v[192:195]// 000000004738: D3F300C0 0F030D66
	v_mfma_f32_16x16x32_fp8_fp8 v[192:195], a[104:105], v[136:137], v[192:195]// 000000004740: D3F300C0 0F031168
	buffer_load_dwordx4 a[84:87], v34, s[20:23], 0 offen offset:1024// 000000004748: E05C1400 80855422
	v_mfma_f32_16x16x32_fp8_fp8 v[192:195], a[106:107], v[138:139], v[192:195]// 000000004750: D3F300C0 0F03156A
	v_mfma_f32_16x16x32_fp8_fp8 v[192:195], a[108:109], v[140:141], v[192:195]// 000000004758: D3F300C0 0F03196C
	v_mfma_f32_16x16x32_fp8_fp8 v[192:195], a[110:111], v[142:143], v[192:195]// 000000004760: D3F300C0 0F031D6E
	v_mfma_f32_16x16x32_fp8_fp8 v[196:199], a[112:113], v[128:129], 0// 000000004768: D3F300C4 0A030170
	buffer_load_dwordx4 a[88:91], v35, s[20:23], 0 offen offset:1024// 000000004770: E05C1400 80855823
	v_mfma_f32_16x16x32_fp8_fp8 v[196:199], a[114:115], v[130:131], v[196:199]// 000000004778: D3F300C4 0F130572
	v_mfma_f32_16x16x32_fp8_fp8 v[196:199], a[116:117], v[132:133], v[196:199]// 000000004780: D3F300C4 0F130974
	v_mfma_f32_16x16x32_fp8_fp8 v[196:199], a[118:119], v[134:135], v[196:199]// 000000004788: D3F300C4 0F130D76
	v_mfma_f32_16x16x32_fp8_fp8 v[196:199], a[120:121], v[136:137], v[196:199]// 000000004790: D3F300C4 0F131178
	buffer_load_dwordx4 a[92:95], v36, s[20:23], 0 offen offset:1024// 000000004798: E05C1400 80855C24
	v_mfma_f32_16x16x32_fp8_fp8 v[196:199], a[122:123], v[138:139], v[196:199]// 0000000047A0: D3F300C4 0F13157A
	v_mfma_f32_16x16x32_fp8_fp8 v[196:199], a[124:125], v[140:141], v[196:199]// 0000000047A8: D3F300C4 0F13197C
	s_lshr_b32 s57, s70, 4                                     // 0000000047B0: 8F398446
	s_add_u32 s57, 48, s57                                     // 0000000047B4: 803939B0
	v_mfma_f32_16x16x32_fp8_fp8 v[196:199], a[126:127], v[142:143], v[196:199]// 0000000047B8: D3F300C4 0F131D7E
	s_cmp_ge_u32 s57, s73                                      // 0000000047C0: BF094939
	s_cselect_b32 s56, 0, s56                                  // 0000000047C4: 85383880
	v_add_u32_e32 v1, s56, v1                                  // 0000000047C8: 68020238
	s_addk_i32 s70, 0x100                                      // 0000000047CC: B7460100
	s_cmp_lt_i32 s70, s71                                      // 0000000047D0: BF044746
	s_cbranch_scc0 label_05BF                                  // 0000000047D4: BF84FC49
	s_branch label_05C2                                        // 0000000047D8: BF82FC4B

00000000000047dc <label_0977>:
	s_lshr_b32 s60, s71, 4                                     // 0000000047DC: 8F3C8447
	s_cmp_eq_i32 s60, s73                                      // 0000000047E0: BF00493C
	s_cbranch_scc1 label_0D38                                  // 0000000047E4: BF8503BE
	s_lshr_b32 s60, s71, 8                                     // 0000000047E8: 8F3C8847
	s_and_b32 s60, s60, 1                                      // 0000000047EC: 863C813C
	s_cmp_eq_i32 s60, 1                                        // 0000000047F0: BF00813C
	s_cbranch_scc1 label_0B5B                                  // 0000000047F4: BF8501DD
	s_waitcnt vmcnt(8) lgkmcnt(0)                              // 0000000047F8: BF8C0078
	s_barrier                                                  // 0000000047FC: BF8A0000
	v_mfma_f32_16x16x32_fp8_fp8 v[128:131], a[0:1], v[96:97], 0// 000000004800: D3F30080 0A02C100
	v_mfma_f32_16x16x32_fp8_fp8 v[128:131], a[2:3], v[98:99], v[128:131]// 000000004808: D3F30080 0E02C502
	v_mfma_f32_16x16x32_fp8_fp8 v[128:131], a[4:5], v[100:101], v[128:131]// 000000004810: D3F30080 0E02C904
	v_mfma_f32_16x16x32_fp8_fp8 v[128:131], a[6:7], v[102:103], v[128:131]// 000000004818: D3F30080 0E02CD06
	v_mfma_f32_16x16x32_fp8_fp8 v[132:135], a[8:9], v[96:97], 0// 000000004820: D3F30084 0A02C108
	v_mfma_f32_16x16x32_fp8_fp8 v[132:135], a[10:11], v[98:99], v[132:135]// 000000004828: D3F30084 0E12C50A
	v_mfma_f32_16x16x32_fp8_fp8 v[132:135], a[12:13], v[100:101], v[132:135]// 000000004830: D3F30084 0E12C90C
	v_mfma_f32_16x16x32_fp8_fp8 v[132:135], a[14:15], v[102:103], v[132:135]// 000000004838: D3F30084 0E12CD0E
	v_mfma_f32_16x16x32_fp8_fp8 v[136:139], a[16:17], v[96:97], 0// 000000004840: D3F30088 0A02C110
	v_mfma_f32_16x16x32_fp8_fp8 v[136:139], a[18:19], v[98:99], v[136:139]// 000000004848: D3F30088 0E22C512
	v_mfma_f32_16x16x32_fp8_fp8 v[136:139], a[20:21], v[100:101], v[136:139]// 000000004850: D3F30088 0E22C914
	v_mfma_f32_16x16x32_fp8_fp8 v[136:139], a[22:23], v[102:103], v[136:139]// 000000004858: D3F30088 0E22CD16
	v_mfma_f32_16x16x32_fp8_fp8 v[140:143], a[24:25], v[96:97], 0// 000000004860: D3F3008C 0A02C118
	v_mfma_f32_16x16x32_fp8_fp8 v[140:143], a[26:27], v[98:99], v[140:143]// 000000004868: D3F3008C 0E32C51A
	v_mfma_f32_16x16x32_fp8_fp8 v[140:143], a[28:29], v[100:101], v[140:143]// 000000004870: D3F3008C 0E32C91C
	v_mfma_f32_16x16x32_fp8_fp8 v[140:143], a[30:31], v[102:103], v[140:143]// 000000004878: D3F3008C 0E32CD1E
	v_mov_b32_dpp v41, v52 row_shr:4 row_mask:0xf bank_mask:0xf// 000000004880: 7E5202FA FF011434
	v_mov_b32_dpp v42, v52 row_shl:4 row_mask:0xf bank_mask:0xf// 000000004888: 7E5402FA FF010434
	v_cndmask_b32_e64 v248, v52, v41, s[44:45]                 // 000000004890: D10000F8 00B25334
	v_cndmask_b32_e64 v249, v42, v52, s[44:45]                 // 000000004898: D10000F9 00B2692A
	v_mov_b32_dpp v41, v72 row_shr:4 row_mask:0xf bank_mask:0xf// 0000000048A0: 7E5202FA FF011448
	v_mov_b32_dpp v42, v72 row_shl:4 row_mask:0xf bank_mask:0xf// 0000000048A8: 7E5402FA FF010448
	v_cndmask_b32_e64 v252, v72, v41, s[44:45]                 // 0000000048B0: D10000FC 00B25348
	v_cndmask_b32_e64 v253, v42, v72, s[44:45]                 // 0000000048B8: D10000FD 00B2912A
	v_or_b32_dpp v128, v136, v128 row_shr:8 row_mask:0xf bank_mask:0xf bound_ctrl:1// 0000000048C0: 290100FA FF091888
	v_or_b32_dpp v129, v137, v129 row_shr:8 row_mask:0xf bank_mask:0xf bound_ctrl:1// 0000000048C8: 290302FA FF091889
	v_or_b32_dpp v130, v138, v130 row_shr:8 row_mask:0xf bank_mask:0xf bound_ctrl:1// 0000000048D0: 290504FA FF09188A
	v_or_b32_dpp v131, v139, v131 row_shr:8 row_mask:0xf bank_mask:0xf bound_ctrl:1// 0000000048D8: 290706FA FF09188B
	v_or_b32_dpp v132, v140, v132 row_shr:8 row_mask:0xf bank_mask:0xf bound_ctrl:1// 0000000048E0: 290908FA FF09188C
	v_or_b32_dpp v133, v141, v133 row_shr:8 row_mask:0xf bank_mask:0xf bound_ctrl:1// 0000000048E8: 290B0AFA FF09188D
	v_or_b32_dpp v134, v142, v134 row_shr:8 row_mask:0xf bank_mask:0xf bound_ctrl:1// 0000000048F0: 290D0CFA FF09188E
	v_or_b32_dpp v135, v143, v135 row_shr:8 row_mask:0xf bank_mask:0xf bound_ctrl:1// 0000000048F8: 290F0EFA FF09188F
	v_mul_f32_e32 v128, v54, v128                              // 000000004900: 0B010136
	v_mul_f32_e32 v129, v54, v129                              // 000000004904: 0B030336
	v_mul_f32_e32 v130, v54, v130                              // 000000004908: 0B050536
	v_mul_f32_e32 v131, v54, v131                              // 00000000490C: 0B070736
	v_mul_f32_e32 v132, v54, v132                              // 000000004910: 0B090936
	v_mul_f32_e32 v133, v54, v133                              // 000000004914: 0B0B0B36
	v_mul_f32_e32 v134, v54, v134                              // 000000004918: 0B0D0D36
	v_mul_f32_e32 v135, v54, v135                              // 00000000491C: 0B0F0F36
	v_mul_f32_dpp v128, v248, v128 quad_perm:[0,0,0,0] row_mask:0xf bank_mask:0xf// 000000004920: 0B0100FA FF0000F8
	v_mul_f32_dpp v129, v248, v129 quad_perm:[1,1,1,1] row_mask:0xf bank_mask:0xf// 000000004928: 0B0302FA FF0055F8
	v_mul_f32_dpp v130, v248, v130 quad_perm:[2,2,2,2] row_mask:0xf bank_mask:0xf// 000000004930: 0B0504FA FF00AAF8
	v_mul_f32_dpp v131, v248, v131 quad_perm:[3,3,3,3] row_mask:0xf bank_mask:0xf// 000000004938: 0B0706FA FF00FFF8
	v_mul_f32_dpp v132, v249, v132 quad_perm:[0,0,0,0] row_mask:0xf bank_mask:0xf// 000000004940: 0B0908FA FF0000F9
	v_mul_f32_dpp v133, v249, v133 quad_perm:[1,1,1,1] row_mask:0xf bank_mask:0xf// 000000004948: 0B0B0AFA FF0055F9
	v_mul_f32_dpp v134, v249, v134 quad_perm:[2,2,2,2] row_mask:0xf bank_mask:0xf// 000000004950: 0B0D0CFA FF00AAF9
	v_mul_f32_dpp v135, v249, v135 quad_perm:[3,3,3,3] row_mask:0xf bank_mask:0xf// 000000004958: 0B0F0EFA FF00FFF9
	s_and_b32 s60, s72, 0xff                                   // 000000004960: 863CFF48 000000FF
	v_mov_b32_e32 v79, s60                                     // 000000004968: 7E9E023C
	v_lshrrev_b32_e32 v240, 4, v0                              // 00000000496C: 21E00084
	v_mul_i32_i24_e32 v240, 4, v240                            // 000000004970: 0DE1E084
	v_and_b32_e32 v41, 15, v0                                  // 000000004974: 2652008F
	v_lshrrev_b32_e32 v41, 3, v41                              // 000000004978: 20525283
	v_mul_i32_i24_e32 v41, 0x80, v41                           // 00000000497C: 0C5252FF 00000080
	v_add_u32_e32 v240, v41, v240                              // 000000004984: 69E1E129
	s_mul_i32 s60, s7, 16                                      // 000000004988: 923C9007
	v_add_u32_e32 v240, s60, v240                              // 00000000498C: 69E1E03C
	v_add_u32_e32 v241, 1, v240                                // 000000004990: 69E3E081
	v_add_u32_e32 v242, 2, v240                                // 000000004994: 69E5E082
	v_add_u32_e32 v243, 3, v240                                // 000000004998: 69E7E083
	v_cmp_lt_u32_e64 s[40:41], v240, v79                       // 00000000499C: D0C90028 00029FF0
	v_add_u32_e32 v240, 64, v240                               // 0000000049A4: 69E1E0C0
	s_nop 0                                                    // 0000000049A8: BF800000
	v_cndmask_b32_e64 v128, v69, v128, s[40:41]                // 0000000049AC: D1000080 00A30145
	v_cmp_lt_u32_e64 s[40:41], v241, v79                       // 0000000049B4: D0C90028 00029FF1
	v_add_u32_e32 v241, 64, v241                               // 0000000049BC: 69E3E2C0
	s_nop 0                                                    // 0000000049C0: BF800000
	v_cndmask_b32_e64 v129, v69, v129, s[40:41]                // 0000000049C4: D1000081 00A30345
	v_cmp_lt_u32_e64 s[40:41], v242, v79                       // 0000000049CC: D0C90028 00029FF2
	v_add_u32_e32 v242, 64, v242                               // 0000000049D4: 69E5E4C0
	s_nop 0                                                    // 0000000049D8: BF800000
	v_cndmask_b32_e64 v130, v69, v130, s[40:41]                // 0000000049DC: D1000082 00A30545
	v_cmp_lt_u32_e64 s[40:41], v243, v79                       // 0000000049E4: D0C90028 00029FF3
	v_add_u32_e32 v243, 64, v243                               // 0000000049EC: 69E7E6C0
	s_nop 0                                                    // 0000000049F0: BF800000
	v_cndmask_b32_e64 v131, v69, v131, s[40:41]                // 0000000049F4: D1000083 00A30745
	v_cmp_lt_u32_e64 s[40:41], v240, v79                       // 0000000049FC: D0C90028 00029FF0
	v_add_u32_e32 v240, 64, v240                               // 000000004A04: 69E1E0C0
	s_nop 0                                                    // 000000004A08: BF800000
	v_cndmask_b32_e64 v132, v69, v132, s[40:41]                // 000000004A0C: D1000084 00A30945
	v_cmp_lt_u32_e64 s[40:41], v241, v79                       // 000000004A14: D0C90028 00029FF1
	v_add_u32_e32 v241, 64, v241                               // 000000004A1C: 69E3E2C0
	s_nop 0                                                    // 000000004A20: BF800000
	v_cndmask_b32_e64 v133, v69, v133, s[40:41]                // 000000004A24: D1000085 00A30B45
	v_cmp_lt_u32_e64 s[40:41], v242, v79                       // 000000004A2C: D0C90028 00029FF2
	v_add_u32_e32 v242, 64, v242                               // 000000004A34: 69E5E4C0
	s_nop 0                                                    // 000000004A38: BF800000
	v_cndmask_b32_e64 v134, v69, v134, s[40:41]                // 000000004A3C: D1000086 00A30D45
	v_cmp_lt_u32_e64 s[40:41], v243, v79                       // 000000004A44: D0C90028 00029FF3
	v_add_u32_e32 v243, 64, v243                               // 000000004A4C: 69E7E6C0
	s_nop 0                                                    // 000000004A50: BF800000
	v_cndmask_b32_e64 v135, v69, v135, s[40:41]                // 000000004A54: D1000087 00A30F45
	v_mov_b32_e32 v62, v128                                    // 000000004A5C: 7E7C0380
	v_max3_f32 v62, v128, v129, v62                            // 000000004A60: D1D3003E 04FB0380
	v_max3_f32 v62, v130, v131, v62                            // 000000004A68: D1D3003E 04FB0782
	v_max3_f32 v62, v132, v133, v62                            // 000000004A70: D1D3003E 04FB0B84
	v_max3_f32 v62, v134, v135, v62                            // 000000004A78: D1D3003E 04FB0F86
	ds_write_b32 v11, v62 offset:16896                         // 000000004A80: D81A4200 00003E0B
	v_mul_u32_u24_dpp v41, v20, v68 row_newbcast:1 row_mask:0xf bank_mask:0xf// 000000004A88: 105288FA FF015114
	v_mul_u32_u24_dpp v42, v20, v68 row_newbcast:5 row_mask:0xf bank_mask:0xf// 000000004A90: 105488FA FF015514
	v_mul_u32_u24_dpp v43, v20, v68 row_newbcast:9 row_mask:0xf bank_mask:0xf// 000000004A98: 105688FA FF015914
	v_mul_u32_u24_dpp v44, v20, v68 row_newbcast:13 row_mask:0xf bank_mask:0xf// 000000004AA0: 105888FA FF015D14
	v_add_u32_e32 v37, v41, v7                                 // 000000004AA8: 684A0F29
	v_add_u32_e32 v38, v42, v7                                 // 000000004AAC: 684C0F2A
	v_add_u32_e32 v39, v43, v7                                 // 000000004AB0: 684E0F2B
	v_add_u32_e32 v40, v44, v7                                 // 000000004AB4: 68500F2C
	s_waitcnt lgkmcnt(0)                                       // 000000004AB8: BF8CC07F
	s_barrier                                                  // 000000004ABC: BF8A0000
	ds_read_b32 v80, v10 offset:16896                          // 000000004AC0: D86C4200 5000000A
	ds_read_b32 v81, v10 offset:16960                          // 000000004AC8: D86C4240 5100000A
	ds_read_b32 v82, v10 offset:17024                          // 000000004AD0: D86C4280 5200000A
	ds_read_b32 v83, v10 offset:17088                          // 000000004AD8: D86C42C0 5300000A
	ds_read_b32 v84, v10 offset:17152                          // 000000004AE0: D86C4300 5400000A
	ds_read_b32 v85, v10 offset:17216                          // 000000004AE8: D86C4340 5500000A
	ds_read_b32 v86, v10 offset:17280                          // 000000004AF0: D86C4380 5600000A
	ds_read_b32 v87, v10 offset:17344                          // 000000004AF8: D86C43C0 5700000A
	ds_read_b32 v88, v10 offset:17408                          // 000000004B00: D86C4400 5800000A
	ds_read_b32 v89, v10 offset:17472                          // 000000004B08: D86C4440 5900000A
	ds_read_b32 v90, v10 offset:17536                          // 000000004B10: D86C4480 5A00000A
	ds_read_b32 v91, v10 offset:17600                          // 000000004B18: D86C44C0 5B00000A
	ds_read_b32 v92, v10 offset:17664                          // 000000004B20: D86C4500 5C00000A
	ds_read_b32 v93, v10 offset:17728                          // 000000004B28: D86C4540 5D00000A
	ds_read_b32 v94, v10 offset:17792                          // 000000004B30: D86C4580 5E00000A
	ds_read_b32 v95, v10 offset:17856                          // 000000004B38: D86C45C0 5F00000A
	v_mul_f32_e32 v224, v63, v224                              // 000000004B40: 0BC1C13F
	v_mul_f32_e32 v225, v63, v225                              // 000000004B44: 0BC3C33F
	v_mul_f32_e32 v226, v63, v226                              // 000000004B48: 0BC5C53F
	v_mul_f32_e32 v227, v63, v227                              // 000000004B4C: 0BC7C73F
	v_or_b32_dpp v192, v196, v192 row_shr:8 row_mask:0xf bank_mask:0xf bound_ctrl:1// 000000004B50: 298180FA FF0918C4
	v_or_b32_dpp v193, v197, v193 row_shr:8 row_mask:0xf bank_mask:0xf bound_ctrl:1// 000000004B58: 298382FA FF0918C5
	v_or_b32_dpp v194, v198, v194 row_shr:8 row_mask:0xf bank_mask:0xf bound_ctrl:1// 000000004B60: 298584FA FF0918C6
	v_or_b32_dpp v195, v199, v195 row_shr:8 row_mask:0xf bank_mask:0xf bound_ctrl:1// 000000004B68: 298786FA FF0918C7
	s_waitcnt lgkmcnt(0)                                       // 000000004B70: BF8CC07F
	v_max3_f32 v62, v80, v81, v62                              // 000000004B74: D1D3003E 04FAA350
	v_max3_f32 v62, v82, v83, v62                              // 000000004B7C: D1D3003E 04FAA752
	v_max3_f32 v62, v84, v85, v62                              // 000000004B84: D1D3003E 04FAAB54
	v_max3_f32 v62, v86, v87, v62                              // 000000004B8C: D1D3003E 04FAAF56
	v_max3_f32 v62, v88, v89, v62                              // 000000004B94: D1D3003E 04FAB358
	v_max3_f32 v62, v90, v91, v62                              // 000000004B9C: D1D3003E 04FAB75A
	v_max3_f32 v62, v92, v93, v62                              // 000000004BA4: D1D3003E 04FABB5C
	v_max3_f32 v62, v94, v95, v62                              // 000000004BAC: D1D3003E 04FABF5E
	v_cmp_eq_u32_e64 s[40:41], v69, v14                        // 000000004BB4: D0CA0028 00021D45
	s_nop 1                                                    // 000000004BBC: BF800001
	v_mov_b32_dpp v41, v62 row_ror:8 row_mask:0xf bank_mask:0xf// 000000004BC0: 7E5202FA FF01283E
	v_max_f32_e32 v62, v62, v41                                // 000000004BC8: 167C533E
	v_max_f32_e32 v18, v62, v14                                // 000000004BCC: 16241D3E
	v_mul_f32_e32 v67, s64, v18                                // 000000004BD0: 0A862440
	v_fma_f32 v128, v128, s64, -v67                            // 000000004BD4: D1CB0080 850C8180
	v_fma_f32 v129, v129, s64, -v67                            // 000000004BDC: D1CB0081 850C8181
	v_fma_f32 v130, v130, s64, -v67                            // 000000004BE4: D1CB0082 850C8182
	v_fma_f32 v131, v131, s64, -v67                            // 000000004BEC: D1CB0083 850C8183
	v_fma_f32 v132, v132, s64, -v67                            // 000000004BF4: D1CB0084 850C8184
	v_fma_f32 v133, v133, s64, -v67                            // 000000004BFC: D1CB0085 850C8185
	v_fma_f32 v134, v134, s64, -v67                            // 000000004C04: D1CB0086 850C8186
	v_fma_f32 v135, v135, s64, -v67                            // 000000004C0C: D1CB0087 850C8187
	v_exp_f32_e32 v128, v128                                   // 000000004C14: 7F004180
	v_exp_f32_e32 v129, v129                                   // 000000004C18: 7F024181
	v_exp_f32_e32 v130, v130                                   // 000000004C1C: 7F044182
	v_exp_f32_e32 v131, v131                                   // 000000004C20: 7F064183
	v_exp_f32_e32 v132, v132                                   // 000000004C24: 7F084184
	v_exp_f32_e32 v133, v133                                   // 000000004C28: 7F0A4185
	v_exp_f32_e32 v134, v134                                   // 000000004C2C: 7F0C4186
	v_exp_f32_e32 v135, v135                                   // 000000004C30: 7F0E4187
	v_mul_f32_dpp v240, v252, v128 quad_perm:[0,0,0,0] row_mask:0xf bank_mask:0xf// 000000004C34: 0BE100FA FF0000FC
	v_mul_f32_dpp v241, v252, v129 quad_perm:[1,1,1,1] row_mask:0xf bank_mask:0xf// 000000004C3C: 0BE302FA FF0055FC
	v_mul_f32_dpp v242, v252, v130 quad_perm:[2,2,2,2] row_mask:0xf bank_mask:0xf// 000000004C44: 0BE504FA FF00AAFC
	v_mul_f32_dpp v243, v252, v131 quad_perm:[3,3,3,3] row_mask:0xf bank_mask:0xf// 000000004C4C: 0BE706FA FF00FFFC
	v_mul_f32_dpp v244, v253, v132 quad_perm:[0,0,0,0] row_mask:0xf bank_mask:0xf// 000000004C54: 0BE908FA FF0000FD
	v_mul_f32_dpp v245, v253, v133 quad_perm:[1,1,1,1] row_mask:0xf bank_mask:0xf// 000000004C5C: 0BEB0AFA FF0055FD
	v_mul_f32_dpp v246, v253, v134 quad_perm:[2,2,2,2] row_mask:0xf bank_mask:0xf// 000000004C64: 0BED0CFA FF00AAFD
	v_mul_f32_dpp v247, v253, v135 quad_perm:[3,3,3,3] row_mask:0xf bank_mask:0xf// 000000004C6C: 0BEF0EFA FF00FFFD
	v_mov_b32_e32 v62, 0x358637bd                              // 000000004C74: 7E7C02FF 358637BD
	v_max3_f32 v62, |v240|, |v241|, v62                        // 000000004C7C: D1D3033E 04FBE3F0
	v_max3_f32 v62, |v242|, |v243|, v62                        // 000000004C84: D1D3033E 04FBE7F2
	v_max3_f32 v62, |v244|, |v245|, v62                        // 000000004C8C: D1D3033E 04FBEBF4
	v_max3_f32 v62, |v246|, |v247|, v62                        // 000000004C94: D1D3033E 04FBEFF6
	ds_write_b32 v11, v62 offset:20992                         // 000000004C9C: D81A5200 00003E0B
	v_sub_f32_e32 v63, v14, v18                                // 000000004CA4: 047E250E
	v_cndmask_b32_e64 v63, v63, 0, s[40:41]                    // 000000004CA8: D100003F 00A1013F
	v_mov_b32_e32 v14, v18                                     // 000000004CB0: 7E1C0312
	v_mul_f32_e32 v63, s64, v63                                // 000000004CB4: 0A7E7E40
	v_exp_f32_e32 v63, v63                                     // 000000004CB8: 7E7E413F
	s_waitcnt lgkmcnt(0)                                       // 000000004CBC: BF8CC07F
	s_barrier                                                  // 000000004CC0: BF8A0000
	ds_read_b32 v80, v10 offset:20992                          // 000000004CC4: D86C5200 5000000A
	ds_read_b32 v81, v10 offset:21056                          // 000000004CCC: D86C5240 5100000A
	ds_read_b32 v82, v10 offset:21120                          // 000000004CD4: D86C5280 5200000A
	ds_read_b32 v83, v10 offset:21184                          // 000000004CDC: D86C52C0 5300000A
	ds_read_b32 v84, v10 offset:21248                          // 000000004CE4: D86C5300 5400000A
	ds_read_b32 v85, v10 offset:21312                          // 000000004CEC: D86C5340 5500000A
	ds_read_b32 v86, v10 offset:21376                          // 000000004CF4: D86C5380 5600000A
	ds_read_b32 v87, v10 offset:21440                          // 000000004CFC: D86C53C0 5700000A
	ds_read_b32 v88, v10 offset:21504                          // 000000004D04: D86C5400 5800000A
	ds_read_b32 v89, v10 offset:21568                          // 000000004D0C: D86C5440 5900000A
	ds_read_b32 v90, v10 offset:21632                          // 000000004D14: D86C5480 5A00000A
	ds_read_b32 v91, v10 offset:21696                          // 000000004D1C: D86C54C0 5B00000A
	ds_read_b32 v92, v10 offset:21760                          // 000000004D24: D86C5500 5C00000A
	ds_read_b32 v93, v10 offset:21824                          // 000000004D2C: D86C5540 5D00000A
	ds_read_b32 v94, v10 offset:21888                          // 000000004D34: D86C5580 5E00000A
	ds_read_b32 v95, v10 offset:21952                          // 000000004D3C: D86C55C0 5F00000A
	v_mul_f32_e32 v47, v63, v47                                // 000000004D44: 0A5E5F3F
	v_mov_b32_e32 v51, v128                                    // 000000004D48: 7E660380
	v_add_f32_e32 v51, v129, v51                               // 000000004D4C: 02666781
	v_add_f32_e32 v51, v130, v51                               // 000000004D50: 02666782
	v_add_f32_e32 v51, v131, v51                               // 000000004D54: 02666783
	v_add_f32_e32 v51, v132, v51                               // 000000004D58: 02666784
	v_add_f32_e32 v51, v133, v51                               // 000000004D5C: 02666785
	v_add_f32_e32 v51, v134, v51                               // 000000004D60: 02666786
	v_add_f32_e32 v51, v135, v51                               // 000000004D64: 02666787
	v_add_f32_e32 v47, v51, v47                                // 000000004D68: 025E5F33
	s_waitcnt lgkmcnt(0)                                       // 000000004D6C: BF8CC07F
	v_max3_f32 v62, |v80|, |v81|, v62                          // 000000004D70: D1D3033E 04FAA350
	v_max3_f32 v62, |v82|, |v83|, v62                          // 000000004D78: D1D3033E 04FAA752
	v_max3_f32 v62, |v84|, |v85|, v62                          // 000000004D80: D1D3033E 04FAAB54
	v_max3_f32 v62, |v86|, |v87|, v62                          // 000000004D88: D1D3033E 04FAAF56
	v_max3_f32 v62, |v88|, |v89|, v62                          // 000000004D90: D1D3033E 04FAB358
	v_max3_f32 v62, |v90|, |v91|, v62                          // 000000004D98: D1D3033E 04FAB75A
	v_max3_f32 v62, |v92|, |v93|, v62                          // 000000004DA0: D1D3033E 04FABB5C
	v_max3_f32 v62, |v94|, |v95|, v62                          // 000000004DA8: D1D3033E 04FABF5E
	s_nop 2                                                    // 000000004DB0: BF800002
	v_mov_b32_dpp v41, v62 row_ror:8 row_mask:0xf bank_mask:0xf// 000000004DB4: 7E5202FA FF01283E
	v_max_f32_e32 v62, v62, v41                                // 000000004DBC: 167C533E
	v_rcp_f32_e32 v62, v62                                     // 000000004DC0: 7E7C453E
	s_nop 1                                                    // 000000004DC4: BF800001
	v_mul_f32_e32 v62, 0x43e00000, v62                         // 000000004DC8: 0A7C7CFF 43E00000
	v_mul_f32_e32 v128, v62, v240                              // 000000004DD0: 0B01E13E
	v_mul_f32_e32 v129, v62, v241                              // 000000004DD4: 0B03E33E
	v_mul_f32_e32 v130, v62, v242                              // 000000004DD8: 0B05E53E
	v_mul_f32_e32 v131, v62, v243                              // 000000004DDC: 0B07E73E
	v_mul_f32_e32 v132, v62, v244                              // 000000004DE0: 0B09E93E
	v_mul_f32_e32 v133, v62, v245                              // 000000004DE4: 0B0BEB3E
	v_mul_f32_e32 v134, v62, v246                              // 000000004DE8: 0B0DED3E
	v_mul_f32_e32 v135, v62, v247                              // 000000004DEC: 0B0FEF3E
	v_cvt_pk_fp8_f32 v128, v128, v129                          // 000000004DF0: D2A20080 00030380
	v_cvt_pk_fp8_f32 v128, v130, v131 op_sel:[0,0,1]           // 000000004DF8: D2A24080 00030782
	v_cvt_pk_fp8_f32 v129, v132, v133                          // 000000004E00: D2A20081 00030B84
	v_cvt_pk_fp8_f32 v129, v134, v135 op_sel:[0,0,1]           // 000000004E08: D2A24081 00030F86
	ds_write_b32 v13, v128 offset:25088                        // 000000004E10: D81A6200 0000800D
	ds_write_b32 v13, v129 offset:26112                        // 000000004E18: D81A6600 0000810D
	v_mul_f32_e32 v192, v58, v192                              // 000000004E20: 0B81813A
	v_mul_f32_e32 v193, v58, v193                              // 000000004E24: 0B83833A
	v_mul_f32_e32 v194, v58, v194                              // 000000004E28: 0B85853A
	v_mul_f32_e32 v195, v58, v195                              // 000000004E2C: 0B87873A
	v_rcp_f32_e32 v58, v62                                     // 000000004E30: 7E74453E
	s_waitcnt lgkmcnt(0)                                       // 000000004E34: BF8CC07F
	s_barrier                                                  // 000000004E38: BF8A0000
	ds_read_b64 v[128:129], v12 offset:25088                   // 000000004E3C: D8EC6200 8000000C
	ds_read_b64 v[130:131], v12 offset:25216                   // 000000004E44: D8EC6280 8200000C
	ds_read_b64 v[132:133], v12 offset:26112                   // 000000004E4C: D8EC6600 8400000C
	ds_read_b64 v[134:135], v12 offset:26240                   // 000000004E54: D8EC6680 8600000C
	v_add_f32_e32 v224, v224, v192                             // 000000004E5C: 03C181E0
	v_add_f32_e32 v225, v225, v193                             // 000000004E60: 03C383E1
	v_add_f32_e32 v226, v226, v194                             // 000000004E64: 03C585E2
	v_add_f32_e32 v227, v227, v195                             // 000000004E68: 03C787E3
	s_waitcnt lgkmcnt(3)                                       // 000000004E6C: BF8CC37F
	v_mov_b32_dpp v136, v128 row_shl:8 row_mask:0xf bank_mask:0xf bound_ctrl:1// 000000004E70: 7F1002FA FF090880
	v_and_b32_e32 v128, v128, v9                               // 000000004E78: 27001380
	v_mov_b32_dpp v137, v129 row_shl:8 row_mask:0xf bank_mask:0xf bound_ctrl:1// 000000004E7C: 7F1202FA FF090881
	v_and_b32_e32 v129, v129, v9                               // 000000004E84: 27021381
	s_waitcnt lgkmcnt(2)                                       // 000000004E88: BF8CC27F
	v_mov_b32_dpp v138, v130 row_shl:8 row_mask:0xf bank_mask:0xf bound_ctrl:1// 000000004E8C: 7F1402FA FF090882
	v_and_b32_e32 v130, v130, v9                               // 000000004E94: 27041382
	v_mov_b32_dpp v139, v131 row_shl:8 row_mask:0xf bank_mask:0xf bound_ctrl:1// 000000004E98: 7F1602FA FF090883
	v_and_b32_e32 v131, v131, v9                               // 000000004EA0: 27061383
	s_waitcnt lgkmcnt(1)                                       // 000000004EA4: BF8CC17F
	v_mov_b32_dpp v140, v132 row_shl:8 row_mask:0xf bank_mask:0xf bound_ctrl:1// 000000004EA8: 7F1802FA FF090884
	v_and_b32_e32 v132, v132, v9                               // 000000004EB0: 27081384
	v_mov_b32_dpp v141, v133 row_shl:8 row_mask:0xf bank_mask:0xf bound_ctrl:1// 000000004EB4: 7F1A02FA FF090885
	v_and_b32_e32 v133, v133, v9                               // 000000004EBC: 270A1385
	s_waitcnt lgkmcnt(0)                                       // 000000004EC0: BF8CC07F
	v_mov_b32_dpp v142, v134 row_shl:8 row_mask:0xf bank_mask:0xf bound_ctrl:1// 000000004EC4: 7F1C02FA FF090886
	v_and_b32_e32 v134, v134, v9                               // 000000004ECC: 270C1386
	v_mov_b32_dpp v143, v135 row_shl:8 row_mask:0xf bank_mask:0xf bound_ctrl:1// 000000004ED0: 7F1E02FA FF090887
	v_and_b32_e32 v135, v135, v9                               // 000000004ED8: 270E1387
	s_waitcnt vmcnt(0)                                         // 000000004EDC: BF8C0F70
	s_barrier                                                  // 000000004EE0: BF8A0000
	v_mfma_f32_16x16x32_fp8_fp8 v[192:195], a[64:65], v[128:129], 0// 000000004EE4: D3F300C0 0A030140
	v_mfma_f32_16x16x32_fp8_fp8 v[192:195], a[66:67], v[130:131], v[192:195]// 000000004EEC: D3F300C0 0F030542
	v_mfma_f32_16x16x32_fp8_fp8 v[192:195], a[68:69], v[132:133], v[192:195]// 000000004EF4: D3F300C0 0F030944
	v_mfma_f32_16x16x32_fp8_fp8 v[192:195], a[70:71], v[134:135], v[192:195]// 000000004EFC: D3F300C0 0F030D46
	v_mfma_f32_16x16x32_fp8_fp8 v[192:195], a[72:73], v[136:137], v[192:195]// 000000004F04: D3F300C0 0F031148
	v_mfma_f32_16x16x32_fp8_fp8 v[192:195], a[74:75], v[138:139], v[192:195]// 000000004F0C: D3F300C0 0F03154A
	v_mfma_f32_16x16x32_fp8_fp8 v[192:195], a[76:77], v[140:141], v[192:195]// 000000004F14: D3F300C0 0F03194C
	v_mfma_f32_16x16x32_fp8_fp8 v[192:195], a[78:79], v[142:143], v[192:195]// 000000004F1C: D3F300C0 0F031D4E
	v_mfma_f32_16x16x32_fp8_fp8 v[196:199], a[80:81], v[128:129], 0// 000000004F24: D3F300C4 0A030150
	v_mfma_f32_16x16x32_fp8_fp8 v[196:199], a[82:83], v[130:131], v[196:199]// 000000004F2C: D3F300C4 0F130552
	v_mfma_f32_16x16x32_fp8_fp8 v[196:199], a[84:85], v[132:133], v[196:199]// 000000004F34: D3F300C4 0F130954
	v_mfma_f32_16x16x32_fp8_fp8 v[196:199], a[86:87], v[134:135], v[196:199]// 000000004F3C: D3F300C4 0F130D56
	v_mfma_f32_16x16x32_fp8_fp8 v[196:199], a[88:89], v[136:137], v[196:199]// 000000004F44: D3F300C4 0F131158
	v_mfma_f32_16x16x32_fp8_fp8 v[196:199], a[90:91], v[138:139], v[196:199]// 000000004F4C: D3F300C4 0F13155A
	v_mfma_f32_16x16x32_fp8_fp8 v[196:199], a[92:93], v[140:141], v[196:199]// 000000004F54: D3F300C4 0F13195C
	v_mfma_f32_16x16x32_fp8_fp8 v[196:199], a[94:95], v[142:143], v[196:199]// 000000004F5C: D3F300C4 0F131D5E
	s_nop 4                                                    // 000000004F64: BF800004
	s_branch label_0D38                                        // 000000004F68: BF8201DD

0000000000004f6c <label_0B5B>:
	s_waitcnt vmcnt(8) lgkmcnt(0)                              // 000000004F6C: BF8C0078
	s_barrier                                                  // 000000004F70: BF8A0000
	v_mfma_f32_16x16x32_fp8_fp8 v[128:131], a[32:33], v[96:97], 0// 000000004F74: D3F30080 0A02C120
	v_mfma_f32_16x16x32_fp8_fp8 v[128:131], a[34:35], v[98:99], v[128:131]// 000000004F7C: D3F30080 0E02C522
	v_mfma_f32_16x16x32_fp8_fp8 v[128:131], a[36:37], v[100:101], v[128:131]// 000000004F84: D3F30080 0E02C924
	v_mfma_f32_16x16x32_fp8_fp8 v[128:131], a[38:39], v[102:103], v[128:131]// 000000004F8C: D3F30080 0E02CD26
	v_mfma_f32_16x16x32_fp8_fp8 v[132:135], a[40:41], v[96:97], 0// 000000004F94: D3F30084 0A02C128
	v_mfma_f32_16x16x32_fp8_fp8 v[132:135], a[42:43], v[98:99], v[132:135]// 000000004F9C: D3F30084 0E12C52A
	v_mfma_f32_16x16x32_fp8_fp8 v[132:135], a[44:45], v[100:101], v[132:135]// 000000004FA4: D3F30084 0E12C92C
	v_mfma_f32_16x16x32_fp8_fp8 v[132:135], a[46:47], v[102:103], v[132:135]// 000000004FAC: D3F30084 0E12CD2E
	v_mfma_f32_16x16x32_fp8_fp8 v[136:139], a[48:49], v[96:97], 0// 000000004FB4: D3F30088 0A02C130
	v_mfma_f32_16x16x32_fp8_fp8 v[136:139], a[50:51], v[98:99], v[136:139]// 000000004FBC: D3F30088 0E22C532
	v_mfma_f32_16x16x32_fp8_fp8 v[136:139], a[52:53], v[100:101], v[136:139]// 000000004FC4: D3F30088 0E22C934
	v_mfma_f32_16x16x32_fp8_fp8 v[136:139], a[54:55], v[102:103], v[136:139]// 000000004FCC: D3F30088 0E22CD36
	v_mfma_f32_16x16x32_fp8_fp8 v[140:143], a[56:57], v[96:97], 0// 000000004FD4: D3F3008C 0A02C138
	v_mfma_f32_16x16x32_fp8_fp8 v[140:143], a[58:59], v[98:99], v[140:143]// 000000004FDC: D3F3008C 0E32C53A
	v_mfma_f32_16x16x32_fp8_fp8 v[140:143], a[60:61], v[100:101], v[140:143]// 000000004FE4: D3F3008C 0E32C93C
	v_mfma_f32_16x16x32_fp8_fp8 v[140:143], a[62:63], v[102:103], v[140:143]// 000000004FEC: D3F3008C 0E32CD3E
	v_mov_b32_dpp v41, v53 row_shr:4 row_mask:0xf bank_mask:0xf// 000000004FF4: 7E5202FA FF011435
	v_mov_b32_dpp v42, v53 row_shl:4 row_mask:0xf bank_mask:0xf// 000000004FFC: 7E5402FA FF010435
	v_cndmask_b32_e64 v248, v53, v41, s[44:45]                 // 000000005004: D10000F8 00B25335
	v_cndmask_b32_e64 v249, v42, v53, s[44:45]                 // 00000000500C: D10000F9 00B26B2A
	v_mov_b32_dpp v41, v73 row_shr:4 row_mask:0xf bank_mask:0xf// 000000005014: 7E5202FA FF011449
	v_mov_b32_dpp v42, v73 row_shl:4 row_mask:0xf bank_mask:0xf// 00000000501C: 7E5402FA FF010449
	v_cndmask_b32_e64 v252, v73, v41, s[44:45]                 // 000000005024: D10000FC 00B25349
	v_cndmask_b32_e64 v253, v42, v73, s[44:45]                 // 00000000502C: D10000FD 00B2932A
	v_or_b32_dpp v128, v136, v128 row_shr:8 row_mask:0xf bank_mask:0xf bound_ctrl:1// 000000005034: 290100FA FF091888
	v_or_b32_dpp v129, v137, v129 row_shr:8 row_mask:0xf bank_mask:0xf bound_ctrl:1// 00000000503C: 290302FA FF091889
	v_or_b32_dpp v130, v138, v130 row_shr:8 row_mask:0xf bank_mask:0xf bound_ctrl:1// 000000005044: 290504FA FF09188A
	v_or_b32_dpp v131, v139, v131 row_shr:8 row_mask:0xf bank_mask:0xf bound_ctrl:1// 00000000504C: 290706FA FF09188B
	v_or_b32_dpp v132, v140, v132 row_shr:8 row_mask:0xf bank_mask:0xf bound_ctrl:1// 000000005054: 290908FA FF09188C
	v_or_b32_dpp v133, v141, v133 row_shr:8 row_mask:0xf bank_mask:0xf bound_ctrl:1// 00000000505C: 290B0AFA FF09188D
	v_or_b32_dpp v134, v142, v134 row_shr:8 row_mask:0xf bank_mask:0xf bound_ctrl:1// 000000005064: 290D0CFA FF09188E
	v_or_b32_dpp v135, v143, v135 row_shr:8 row_mask:0xf bank_mask:0xf bound_ctrl:1// 00000000506C: 290F0EFA FF09188F
	v_mul_f32_e32 v128, v54, v128                              // 000000005074: 0B010136
	v_mul_f32_e32 v129, v54, v129                              // 000000005078: 0B030336
	v_mul_f32_e32 v130, v54, v130                              // 00000000507C: 0B050536
	v_mul_f32_e32 v131, v54, v131                              // 000000005080: 0B070736
	v_mul_f32_e32 v132, v54, v132                              // 000000005084: 0B090936
	v_mul_f32_e32 v133, v54, v133                              // 000000005088: 0B0B0B36
	v_mul_f32_e32 v134, v54, v134                              // 00000000508C: 0B0D0D36
	v_mul_f32_e32 v135, v54, v135                              // 000000005090: 0B0F0F36
	v_mul_f32_dpp v128, v248, v128 quad_perm:[0,0,0,0] row_mask:0xf bank_mask:0xf// 000000005094: 0B0100FA FF0000F8
	v_mul_f32_dpp v129, v248, v129 quad_perm:[1,1,1,1] row_mask:0xf bank_mask:0xf// 00000000509C: 0B0302FA FF0055F8
	v_mul_f32_dpp v130, v248, v130 quad_perm:[2,2,2,2] row_mask:0xf bank_mask:0xf// 0000000050A4: 0B0504FA FF00AAF8
	v_mul_f32_dpp v131, v248, v131 quad_perm:[3,3,3,3] row_mask:0xf bank_mask:0xf// 0000000050AC: 0B0706FA FF00FFF8
	v_mul_f32_dpp v132, v249, v132 quad_perm:[0,0,0,0] row_mask:0xf bank_mask:0xf// 0000000050B4: 0B0908FA FF0000F9
	v_mul_f32_dpp v133, v249, v133 quad_perm:[1,1,1,1] row_mask:0xf bank_mask:0xf// 0000000050BC: 0B0B0AFA FF0055F9
	v_mul_f32_dpp v134, v249, v134 quad_perm:[2,2,2,2] row_mask:0xf bank_mask:0xf// 0000000050C4: 0B0D0CFA FF00AAF9
	v_mul_f32_dpp v135, v249, v135 quad_perm:[3,3,3,3] row_mask:0xf bank_mask:0xf// 0000000050CC: 0B0F0EFA FF00FFF9
	s_and_b32 s60, s72, 0xff                                   // 0000000050D4: 863CFF48 000000FF
	v_mov_b32_e32 v79, s60                                     // 0000000050DC: 7E9E023C
	v_lshrrev_b32_e32 v240, 4, v0                              // 0000000050E0: 21E00084
	v_mul_i32_i24_e32 v240, 4, v240                            // 0000000050E4: 0DE1E084
	v_and_b32_e32 v41, 15, v0                                  // 0000000050E8: 2652008F
	v_lshrrev_b32_e32 v41, 3, v41                              // 0000000050EC: 20525283
	v_mul_i32_i24_e32 v41, 0x80, v41                           // 0000000050F0: 0C5252FF 00000080
	v_add_u32_e32 v240, v41, v240                              // 0000000050F8: 69E1E129
	s_mul_i32 s60, s7, 16                                      // 0000000050FC: 923C9007
	v_add_u32_e32 v240, s60, v240                              // 000000005100: 69E1E03C
	v_add_u32_e32 v241, 1, v240                                // 000000005104: 69E3E081
	v_add_u32_e32 v242, 2, v240                                // 000000005108: 69E5E082
	v_add_u32_e32 v243, 3, v240                                // 00000000510C: 69E7E083
	v_cmp_lt_u32_e64 s[40:41], v240, v79                       // 000000005110: D0C90028 00029FF0
	v_add_u32_e32 v240, 64, v240                               // 000000005118: 69E1E0C0
	s_nop 0                                                    // 00000000511C: BF800000
	v_cndmask_b32_e64 v128, v69, v128, s[40:41]                // 000000005120: D1000080 00A30145
	v_cmp_lt_u32_e64 s[40:41], v241, v79                       // 000000005128: D0C90028 00029FF1
	v_add_u32_e32 v241, 64, v241                               // 000000005130: 69E3E2C0
	s_nop 0                                                    // 000000005134: BF800000
	v_cndmask_b32_e64 v129, v69, v129, s[40:41]                // 000000005138: D1000081 00A30345
	v_cmp_lt_u32_e64 s[40:41], v242, v79                       // 000000005140: D0C90028 00029FF2
	v_add_u32_e32 v242, 64, v242                               // 000000005148: 69E5E4C0
	s_nop 0                                                    // 00000000514C: BF800000
	v_cndmask_b32_e64 v130, v69, v130, s[40:41]                // 000000005150: D1000082 00A30545
	v_cmp_lt_u32_e64 s[40:41], v243, v79                       // 000000005158: D0C90028 00029FF3
	v_add_u32_e32 v243, 64, v243                               // 000000005160: 69E7E6C0
	s_nop 0                                                    // 000000005164: BF800000
	v_cndmask_b32_e64 v131, v69, v131, s[40:41]                // 000000005168: D1000083 00A30745
	v_cmp_lt_u32_e64 s[40:41], v240, v79                       // 000000005170: D0C90028 00029FF0
	v_add_u32_e32 v240, 64, v240                               // 000000005178: 69E1E0C0
	s_nop 0                                                    // 00000000517C: BF800000
	v_cndmask_b32_e64 v132, v69, v132, s[40:41]                // 000000005180: D1000084 00A30945
	v_cmp_lt_u32_e64 s[40:41], v241, v79                       // 000000005188: D0C90028 00029FF1
	v_add_u32_e32 v241, 64, v241                               // 000000005190: 69E3E2C0
	s_nop 0                                                    // 000000005194: BF800000
	v_cndmask_b32_e64 v133, v69, v133, s[40:41]                // 000000005198: D1000085 00A30B45
	v_cmp_lt_u32_e64 s[40:41], v242, v79                       // 0000000051A0: D0C90028 00029FF2
	v_add_u32_e32 v242, 64, v242                               // 0000000051A8: 69E5E4C0
	s_nop 0                                                    // 0000000051AC: BF800000
	v_cndmask_b32_e64 v134, v69, v134, s[40:41]                // 0000000051B0: D1000086 00A30D45
	v_cmp_lt_u32_e64 s[40:41], v243, v79                       // 0000000051B8: D0C90028 00029FF3
	v_add_u32_e32 v243, 64, v243                               // 0000000051C0: 69E7E6C0
	s_nop 0                                                    // 0000000051C4: BF800000
	v_cndmask_b32_e64 v135, v69, v135, s[40:41]                // 0000000051C8: D1000087 00A30F45
	v_mov_b32_e32 v62, v128                                    // 0000000051D0: 7E7C0380
	v_max3_f32 v62, v128, v129, v62                            // 0000000051D4: D1D3003E 04FB0380
	v_max3_f32 v62, v130, v131, v62                            // 0000000051DC: D1D3003E 04FB0782
	v_max3_f32 v62, v132, v133, v62                            // 0000000051E4: D1D3003E 04FB0B84
	v_max3_f32 v62, v134, v135, v62                            // 0000000051EC: D1D3003E 04FB0F86
	ds_write_b32 v11, v62 offset:16896                         // 0000000051F4: D81A4200 00003E0B
	v_mul_u32_u24_dpp v41, v19, v68 row_newbcast:1 row_mask:0xf bank_mask:0xf// 0000000051FC: 105288FA FF015113
	v_mul_u32_u24_dpp v42, v19, v68 row_newbcast:5 row_mask:0xf bank_mask:0xf// 000000005204: 105488FA FF015513
	v_mul_u32_u24_dpp v43, v19, v68 row_newbcast:9 row_mask:0xf bank_mask:0xf// 00000000520C: 105688FA FF015913
	v_mul_u32_u24_dpp v44, v19, v68 row_newbcast:13 row_mask:0xf bank_mask:0xf// 000000005214: 105888FA FF015D13
	v_add_u32_e32 v33, v41, v7                                 // 00000000521C: 68420F29
	v_add_u32_e32 v34, v42, v7                                 // 000000005220: 68440F2A
	v_add_u32_e32 v35, v43, v7                                 // 000000005224: 68460F2B
	v_add_u32_e32 v36, v44, v7                                 // 000000005228: 68480F2C
	s_waitcnt lgkmcnt(0)                                       // 00000000522C: BF8CC07F
	s_barrier                                                  // 000000005230: BF8A0000
	ds_read_b32 v80, v10 offset:16896                          // 000000005234: D86C4200 5000000A
	ds_read_b32 v81, v10 offset:16960                          // 00000000523C: D86C4240 5100000A
	ds_read_b32 v82, v10 offset:17024                          // 000000005244: D86C4280 5200000A
	ds_read_b32 v83, v10 offset:17088                          // 00000000524C: D86C42C0 5300000A
	ds_read_b32 v84, v10 offset:17152                          // 000000005254: D86C4300 5400000A
	ds_read_b32 v85, v10 offset:17216                          // 00000000525C: D86C4340 5500000A
	ds_read_b32 v86, v10 offset:17280                          // 000000005264: D86C4380 5600000A
	ds_read_b32 v87, v10 offset:17344                          // 00000000526C: D86C43C0 5700000A
	ds_read_b32 v88, v10 offset:17408                          // 000000005274: D86C4400 5800000A
	ds_read_b32 v89, v10 offset:17472                          // 00000000527C: D86C4440 5900000A
	ds_read_b32 v90, v10 offset:17536                          // 000000005284: D86C4480 5A00000A
	ds_read_b32 v91, v10 offset:17600                          // 00000000528C: D86C44C0 5B00000A
	ds_read_b32 v92, v10 offset:17664                          // 000000005294: D86C4500 5C00000A
	ds_read_b32 v93, v10 offset:17728                          // 00000000529C: D86C4540 5D00000A
	ds_read_b32 v94, v10 offset:17792                          // 0000000052A4: D86C4580 5E00000A
	ds_read_b32 v95, v10 offset:17856                          // 0000000052AC: D86C45C0 5F00000A
	v_mul_f32_e32 v224, v63, v224                              // 0000000052B4: 0BC1C13F
	v_mul_f32_e32 v225, v63, v225                              // 0000000052B8: 0BC3C33F
	v_mul_f32_e32 v226, v63, v226                              // 0000000052BC: 0BC5C53F
	v_mul_f32_e32 v227, v63, v227                              // 0000000052C0: 0BC7C73F
	v_or_b32_dpp v192, v196, v192 row_shr:8 row_mask:0xf bank_mask:0xf bound_ctrl:1// 0000000052C4: 298180FA FF0918C4
	v_or_b32_dpp v193, v197, v193 row_shr:8 row_mask:0xf bank_mask:0xf bound_ctrl:1// 0000000052CC: 298382FA FF0918C5
	v_or_b32_dpp v194, v198, v194 row_shr:8 row_mask:0xf bank_mask:0xf bound_ctrl:1// 0000000052D4: 298584FA FF0918C6
	v_or_b32_dpp v195, v199, v195 row_shr:8 row_mask:0xf bank_mask:0xf bound_ctrl:1// 0000000052DC: 298786FA FF0918C7
	s_waitcnt lgkmcnt(0)                                       // 0000000052E4: BF8CC07F
	v_max3_f32 v62, v80, v81, v62                              // 0000000052E8: D1D3003E 04FAA350
	v_max3_f32 v62, v82, v83, v62                              // 0000000052F0: D1D3003E 04FAA752
	v_max3_f32 v62, v84, v85, v62                              // 0000000052F8: D1D3003E 04FAAB54
	v_max3_f32 v62, v86, v87, v62                              // 000000005300: D1D3003E 04FAAF56
	v_max3_f32 v62, v88, v89, v62                              // 000000005308: D1D3003E 04FAB358
	v_max3_f32 v62, v90, v91, v62                              // 000000005310: D1D3003E 04FAB75A
	v_max3_f32 v62, v92, v93, v62                              // 000000005318: D1D3003E 04FABB5C
	v_max3_f32 v62, v94, v95, v62                              // 000000005320: D1D3003E 04FABF5E
	v_cmp_eq_u32_e64 s[40:41], v69, v14                        // 000000005328: D0CA0028 00021D45
	s_nop 1                                                    // 000000005330: BF800001
	v_mov_b32_dpp v41, v62 row_ror:8 row_mask:0xf bank_mask:0xf// 000000005334: 7E5202FA FF01283E
	v_max_f32_e32 v62, v62, v41                                // 00000000533C: 167C533E
	v_max_f32_e32 v18, v62, v14                                // 000000005340: 16241D3E
	v_mul_f32_e32 v67, s64, v18                                // 000000005344: 0A862440
	v_fma_f32 v128, v128, s64, -v67                            // 000000005348: D1CB0080 850C8180
	v_fma_f32 v129, v129, s64, -v67                            // 000000005350: D1CB0081 850C8181
	v_fma_f32 v130, v130, s64, -v67                            // 000000005358: D1CB0082 850C8182
	v_fma_f32 v131, v131, s64, -v67                            // 000000005360: D1CB0083 850C8183
	v_fma_f32 v132, v132, s64, -v67                            // 000000005368: D1CB0084 850C8184
	v_fma_f32 v133, v133, s64, -v67                            // 000000005370: D1CB0085 850C8185
	v_fma_f32 v134, v134, s64, -v67                            // 000000005378: D1CB0086 850C8186
	v_fma_f32 v135, v135, s64, -v67                            // 000000005380: D1CB0087 850C8187
	v_exp_f32_e32 v128, v128                                   // 000000005388: 7F004180
	v_exp_f32_e32 v129, v129                                   // 00000000538C: 7F024181
	v_exp_f32_e32 v130, v130                                   // 000000005390: 7F044182
	v_exp_f32_e32 v131, v131                                   // 000000005394: 7F064183
	v_exp_f32_e32 v132, v132                                   // 000000005398: 7F084184
	v_exp_f32_e32 v133, v133                                   // 00000000539C: 7F0A4185
	v_exp_f32_e32 v134, v134                                   // 0000000053A0: 7F0C4186
	v_exp_f32_e32 v135, v135                                   // 0000000053A4: 7F0E4187
	v_mul_f32_dpp v240, v252, v128 quad_perm:[0,0,0,0] row_mask:0xf bank_mask:0xf// 0000000053A8: 0BE100FA FF0000FC
	v_mul_f32_dpp v241, v252, v129 quad_perm:[1,1,1,1] row_mask:0xf bank_mask:0xf// 0000000053B0: 0BE302FA FF0055FC
	v_mul_f32_dpp v242, v252, v130 quad_perm:[2,2,2,2] row_mask:0xf bank_mask:0xf// 0000000053B8: 0BE504FA FF00AAFC
	v_mul_f32_dpp v243, v252, v131 quad_perm:[3,3,3,3] row_mask:0xf bank_mask:0xf// 0000000053C0: 0BE706FA FF00FFFC
	v_mul_f32_dpp v244, v253, v132 quad_perm:[0,0,0,0] row_mask:0xf bank_mask:0xf// 0000000053C8: 0BE908FA FF0000FD
	v_mul_f32_dpp v245, v253, v133 quad_perm:[1,1,1,1] row_mask:0xf bank_mask:0xf// 0000000053D0: 0BEB0AFA FF0055FD
	v_mul_f32_dpp v246, v253, v134 quad_perm:[2,2,2,2] row_mask:0xf bank_mask:0xf// 0000000053D8: 0BED0CFA FF00AAFD
	v_mul_f32_dpp v247, v253, v135 quad_perm:[3,3,3,3] row_mask:0xf bank_mask:0xf// 0000000053E0: 0BEF0EFA FF00FFFD
	v_mov_b32_e32 v62, 0x358637bd                              // 0000000053E8: 7E7C02FF 358637BD
	v_max3_f32 v62, |v240|, |v241|, v62                        // 0000000053F0: D1D3033E 04FBE3F0
	v_max3_f32 v62, |v242|, |v243|, v62                        // 0000000053F8: D1D3033E 04FBE7F2
	v_max3_f32 v62, |v244|, |v245|, v62                        // 000000005400: D1D3033E 04FBEBF4
	v_max3_f32 v62, |v246|, |v247|, v62                        // 000000005408: D1D3033E 04FBEFF6
	ds_write_b32 v11, v62 offset:20992                         // 000000005410: D81A5200 00003E0B
	v_sub_f32_e32 v63, v14, v18                                // 000000005418: 047E250E
	v_cndmask_b32_e64 v63, v63, 0, s[40:41]                    // 00000000541C: D100003F 00A1013F
	v_mov_b32_e32 v14, v18                                     // 000000005424: 7E1C0312
	v_mul_f32_e32 v63, s64, v63                                // 000000005428: 0A7E7E40
	v_exp_f32_e32 v63, v63                                     // 00000000542C: 7E7E413F
	s_waitcnt lgkmcnt(0)                                       // 000000005430: BF8CC07F
	s_barrier                                                  // 000000005434: BF8A0000
	ds_read_b32 v80, v10 offset:20992                          // 000000005438: D86C5200 5000000A
	ds_read_b32 v81, v10 offset:21056                          // 000000005440: D86C5240 5100000A
	ds_read_b32 v82, v10 offset:21120                          // 000000005448: D86C5280 5200000A
	ds_read_b32 v83, v10 offset:21184                          // 000000005450: D86C52C0 5300000A
	ds_read_b32 v84, v10 offset:21248                          // 000000005458: D86C5300 5400000A
	ds_read_b32 v85, v10 offset:21312                          // 000000005460: D86C5340 5500000A
	ds_read_b32 v86, v10 offset:21376                          // 000000005468: D86C5380 5600000A
	ds_read_b32 v87, v10 offset:21440                          // 000000005470: D86C53C0 5700000A
	ds_read_b32 v88, v10 offset:21504                          // 000000005478: D86C5400 5800000A
	ds_read_b32 v89, v10 offset:21568                          // 000000005480: D86C5440 5900000A
	ds_read_b32 v90, v10 offset:21632                          // 000000005488: D86C5480 5A00000A
	ds_read_b32 v91, v10 offset:21696                          // 000000005490: D86C54C0 5B00000A
	ds_read_b32 v92, v10 offset:21760                          // 000000005498: D86C5500 5C00000A
	ds_read_b32 v93, v10 offset:21824                          // 0000000054A0: D86C5540 5D00000A
	ds_read_b32 v94, v10 offset:21888                          // 0000000054A8: D86C5580 5E00000A
	ds_read_b32 v95, v10 offset:21952                          // 0000000054B0: D86C55C0 5F00000A
	v_mul_f32_e32 v47, v63, v47                                // 0000000054B8: 0A5E5F3F
	v_mov_b32_e32 v51, v128                                    // 0000000054BC: 7E660380
	v_add_f32_e32 v51, v129, v51                               // 0000000054C0: 02666781
	v_add_f32_e32 v51, v130, v51                               // 0000000054C4: 02666782
	v_add_f32_e32 v51, v131, v51                               // 0000000054C8: 02666783
	v_add_f32_e32 v51, v132, v51                               // 0000000054CC: 02666784
	v_add_f32_e32 v51, v133, v51                               // 0000000054D0: 02666785
	v_add_f32_e32 v51, v134, v51                               // 0000000054D4: 02666786
	v_add_f32_e32 v51, v135, v51                               // 0000000054D8: 02666787
	v_add_f32_e32 v47, v51, v47                                // 0000000054DC: 025E5F33
	s_waitcnt lgkmcnt(0)                                       // 0000000054E0: BF8CC07F
	v_max3_f32 v62, |v80|, |v81|, v62                          // 0000000054E4: D1D3033E 04FAA350
	v_max3_f32 v62, |v82|, |v83|, v62                          // 0000000054EC: D1D3033E 04FAA752
	v_max3_f32 v62, |v84|, |v85|, v62                          // 0000000054F4: D1D3033E 04FAAB54
	v_max3_f32 v62, |v86|, |v87|, v62                          // 0000000054FC: D1D3033E 04FAAF56
	v_max3_f32 v62, |v88|, |v89|, v62                          // 000000005504: D1D3033E 04FAB358
	v_max3_f32 v62, |v90|, |v91|, v62                          // 00000000550C: D1D3033E 04FAB75A
	v_max3_f32 v62, |v92|, |v93|, v62                          // 000000005514: D1D3033E 04FABB5C
	v_max3_f32 v62, |v94|, |v95|, v62                          // 00000000551C: D1D3033E 04FABF5E
	s_nop 2                                                    // 000000005524: BF800002
	v_mov_b32_dpp v41, v62 row_ror:8 row_mask:0xf bank_mask:0xf// 000000005528: 7E5202FA FF01283E
	v_max_f32_e32 v62, v62, v41                                // 000000005530: 167C533E
	v_rcp_f32_e32 v62, v62                                     // 000000005534: 7E7C453E
	s_nop 1                                                    // 000000005538: BF800001
	v_mul_f32_e32 v62, 0x43e00000, v62                         // 00000000553C: 0A7C7CFF 43E00000
	v_mul_f32_e32 v128, v62, v240                              // 000000005544: 0B01E13E
	v_mul_f32_e32 v129, v62, v241                              // 000000005548: 0B03E33E
	v_mul_f32_e32 v130, v62, v242                              // 00000000554C: 0B05E53E
	v_mul_f32_e32 v131, v62, v243                              // 000000005550: 0B07E73E
	v_mul_f32_e32 v132, v62, v244                              // 000000005554: 0B09E93E
	v_mul_f32_e32 v133, v62, v245                              // 000000005558: 0B0BEB3E
	v_mul_f32_e32 v134, v62, v246                              // 00000000555C: 0B0DED3E
	v_mul_f32_e32 v135, v62, v247                              // 000000005560: 0B0FEF3E
	v_cvt_pk_fp8_f32 v128, v128, v129                          // 000000005564: D2A20080 00030380
	v_cvt_pk_fp8_f32 v128, v130, v131 op_sel:[0,0,1]           // 00000000556C: D2A24080 00030782
	v_cvt_pk_fp8_f32 v129, v132, v133                          // 000000005574: D2A20081 00030B84
	v_cvt_pk_fp8_f32 v129, v134, v135 op_sel:[0,0,1]           // 00000000557C: D2A24081 00030F86
	ds_write_b32 v13, v128 offset:25088                        // 000000005584: D81A6200 0000800D
	ds_write_b32 v13, v129 offset:26112                        // 00000000558C: D81A6600 0000810D
	v_mul_f32_e32 v192, v58, v192                              // 000000005594: 0B81813A
	v_mul_f32_e32 v193, v58, v193                              // 000000005598: 0B83833A
	v_mul_f32_e32 v194, v58, v194                              // 00000000559C: 0B85853A
	v_mul_f32_e32 v195, v58, v195                              // 0000000055A0: 0B87873A
	v_rcp_f32_e32 v58, v62                                     // 0000000055A4: 7E74453E
	s_waitcnt lgkmcnt(0)                                       // 0000000055A8: BF8CC07F
	s_barrier                                                  // 0000000055AC: BF8A0000
	ds_read_b64 v[128:129], v12 offset:25088                   // 0000000055B0: D8EC6200 8000000C
	ds_read_b64 v[130:131], v12 offset:25216                   // 0000000055B8: D8EC6280 8200000C
	ds_read_b64 v[132:133], v12 offset:26112                   // 0000000055C0: D8EC6600 8400000C
	ds_read_b64 v[134:135], v12 offset:26240                   // 0000000055C8: D8EC6680 8600000C
	v_add_f32_e32 v224, v224, v192                             // 0000000055D0: 03C181E0
	v_add_f32_e32 v225, v225, v193                             // 0000000055D4: 03C383E1
	v_add_f32_e32 v226, v226, v194                             // 0000000055D8: 03C585E2
	v_add_f32_e32 v227, v227, v195                             // 0000000055DC: 03C787E3
	s_waitcnt lgkmcnt(3)                                       // 0000000055E0: BF8CC37F
	v_mov_b32_dpp v136, v128 row_shl:8 row_mask:0xf bank_mask:0xf bound_ctrl:1// 0000000055E4: 7F1002FA FF090880
	v_and_b32_e32 v128, v128, v9                               // 0000000055EC: 27001380
	v_mov_b32_dpp v137, v129 row_shl:8 row_mask:0xf bank_mask:0xf bound_ctrl:1// 0000000055F0: 7F1202FA FF090881
	v_and_b32_e32 v129, v129, v9                               // 0000000055F8: 27021381
	s_waitcnt lgkmcnt(2)                                       // 0000000055FC: BF8CC27F
	v_mov_b32_dpp v138, v130 row_shl:8 row_mask:0xf bank_mask:0xf bound_ctrl:1// 000000005600: 7F1402FA FF090882
	v_and_b32_e32 v130, v130, v9                               // 000000005608: 27041382
	v_mov_b32_dpp v139, v131 row_shl:8 row_mask:0xf bank_mask:0xf bound_ctrl:1// 00000000560C: 7F1602FA FF090883
	v_and_b32_e32 v131, v131, v9                               // 000000005614: 27061383
	s_waitcnt lgkmcnt(1)                                       // 000000005618: BF8CC17F
	v_mov_b32_dpp v140, v132 row_shl:8 row_mask:0xf bank_mask:0xf bound_ctrl:1// 00000000561C: 7F1802FA FF090884
	v_and_b32_e32 v132, v132, v9                               // 000000005624: 27081384
	v_mov_b32_dpp v141, v133 row_shl:8 row_mask:0xf bank_mask:0xf bound_ctrl:1// 000000005628: 7F1A02FA FF090885
	v_and_b32_e32 v133, v133, v9                               // 000000005630: 270A1385
	s_waitcnt lgkmcnt(0)                                       // 000000005634: BF8CC07F
	v_mov_b32_dpp v142, v134 row_shl:8 row_mask:0xf bank_mask:0xf bound_ctrl:1// 000000005638: 7F1C02FA FF090886
	v_and_b32_e32 v134, v134, v9                               // 000000005640: 270C1386
	v_mov_b32_dpp v143, v135 row_shl:8 row_mask:0xf bank_mask:0xf bound_ctrl:1// 000000005644: 7F1E02FA FF090887
	v_and_b32_e32 v135, v135, v9                               // 00000000564C: 270E1387
	s_waitcnt vmcnt(0)                                         // 000000005650: BF8C0F70
	s_barrier                                                  // 000000005654: BF8A0000
	v_mfma_f32_16x16x32_fp8_fp8 v[192:195], a[96:97], v[128:129], 0// 000000005658: D3F300C0 0A030160
	v_mfma_f32_16x16x32_fp8_fp8 v[192:195], a[98:99], v[130:131], v[192:195]// 000000005660: D3F300C0 0F030562
	v_mfma_f32_16x16x32_fp8_fp8 v[192:195], a[100:101], v[132:133], v[192:195]// 000000005668: D3F300C0 0F030964
	v_mfma_f32_16x16x32_fp8_fp8 v[192:195], a[102:103], v[134:135], v[192:195]// 000000005670: D3F300C0 0F030D66
	v_mfma_f32_16x16x32_fp8_fp8 v[192:195], a[104:105], v[136:137], v[192:195]// 000000005678: D3F300C0 0F031168
	v_mfma_f32_16x16x32_fp8_fp8 v[192:195], a[106:107], v[138:139], v[192:195]// 000000005680: D3F300C0 0F03156A
	v_mfma_f32_16x16x32_fp8_fp8 v[192:195], a[108:109], v[140:141], v[192:195]// 000000005688: D3F300C0 0F03196C
	v_mfma_f32_16x16x32_fp8_fp8 v[192:195], a[110:111], v[142:143], v[192:195]// 000000005690: D3F300C0 0F031D6E
	v_mfma_f32_16x16x32_fp8_fp8 v[196:199], a[112:113], v[128:129], 0// 000000005698: D3F300C4 0A030170
	v_mfma_f32_16x16x32_fp8_fp8 v[196:199], a[114:115], v[130:131], v[196:199]// 0000000056A0: D3F300C4 0F130572
	v_mfma_f32_16x16x32_fp8_fp8 v[196:199], a[116:117], v[132:133], v[196:199]// 0000000056A8: D3F300C4 0F130974
	v_mfma_f32_16x16x32_fp8_fp8 v[196:199], a[118:119], v[134:135], v[196:199]// 0000000056B0: D3F300C4 0F130D76
	v_mfma_f32_16x16x32_fp8_fp8 v[196:199], a[120:121], v[136:137], v[196:199]// 0000000056B8: D3F300C4 0F131178
	v_mfma_f32_16x16x32_fp8_fp8 v[196:199], a[122:123], v[138:139], v[196:199]// 0000000056C0: D3F300C4 0F13157A
	v_mfma_f32_16x16x32_fp8_fp8 v[196:199], a[124:125], v[140:141], v[196:199]// 0000000056C8: D3F300C4 0F13197C
	v_mfma_f32_16x16x32_fp8_fp8 v[196:199], a[126:127], v[142:143], v[196:199]// 0000000056D0: D3F300C4 0F131D7E
	s_nop 4                                                    // 0000000056D8: BF800004
	s_branch label_0D38                                        // 0000000056DC: BF820000

00000000000056e0 <label_0D38>:
	v_mul_f32_e32 v224, v63, v224                              // 0000000056E0: 0BC1C13F
	v_mul_f32_e32 v225, v63, v225                              // 0000000056E4: 0BC3C33F
	v_mul_f32_e32 v226, v63, v226                              // 0000000056E8: 0BC5C53F
	v_mul_f32_e32 v227, v63, v227                              // 0000000056EC: 0BC7C73F
	v_or_b32_dpp v192, v196, v192 row_shr:8 row_mask:0xf bank_mask:0xf bound_ctrl:1// 0000000056F0: 298180FA FF0918C4
	v_or_b32_dpp v193, v197, v193 row_shr:8 row_mask:0xf bank_mask:0xf bound_ctrl:1// 0000000056F8: 298382FA FF0918C5
	v_or_b32_dpp v194, v198, v194 row_shr:8 row_mask:0xf bank_mask:0xf bound_ctrl:1// 000000005700: 298584FA FF0918C6
	v_or_b32_dpp v195, v199, v195 row_shr:8 row_mask:0xf bank_mask:0xf bound_ctrl:1// 000000005708: 298786FA FF0918C7
	v_mul_f32_e32 v192, v58, v192                              // 000000005710: 0B81813A
	v_mul_f32_e32 v193, v58, v193                              // 000000005714: 0B83833A
	v_mul_f32_e32 v194, v58, v194                              // 000000005718: 0B85853A
	v_mul_f32_e32 v195, v58, v195                              // 00000000571C: 0B87873A
	v_add_f32_e32 v224, v224, v192                             // 000000005720: 03C181E0
	v_add_f32_e32 v225, v225, v193                             // 000000005724: 03C383E1
	v_add_f32_e32 v226, v226, v194                             // 000000005728: 03C585E2
	v_add_f32_e32 v227, v227, v195                             // 00000000572C: 03C787E3
	ds_write_b32 v11, v47 offset:16896                         // 000000005730: D81A4200 00002F0B
	s_waitcnt lgkmcnt(0)                                       // 000000005738: BF8CC07F
	s_barrier                                                  // 00000000573C: BF8A0000
	ds_read_b32 v80, v10 offset:16896                          // 000000005740: D86C4200 5000000A
	ds_read_b32 v81, v10 offset:16960                          // 000000005748: D86C4240 5100000A
	ds_read_b32 v82, v10 offset:17024                          // 000000005750: D86C4280 5200000A
	ds_read_b32 v83, v10 offset:17088                          // 000000005758: D86C42C0 5300000A
	ds_read_b32 v84, v10 offset:17152                          // 000000005760: D86C4300 5400000A
	ds_read_b32 v85, v10 offset:17216                          // 000000005768: D86C4340 5500000A
	ds_read_b32 v86, v10 offset:17280                          // 000000005770: D86C4380 5600000A
	ds_read_b32 v87, v10 offset:17344                          // 000000005778: D86C43C0 5700000A
	ds_read_b32 v88, v10 offset:17408                          // 000000005780: D86C4400 5800000A
	ds_read_b32 v89, v10 offset:17472                          // 000000005788: D86C4440 5900000A
	ds_read_b32 v90, v10 offset:17536                          // 000000005790: D86C4480 5A00000A
	ds_read_b32 v91, v10 offset:17600                          // 000000005798: D86C44C0 5B00000A
	ds_read_b32 v92, v10 offset:17664                          // 0000000057A0: D86C4500 5C00000A
	ds_read_b32 v93, v10 offset:17728                          // 0000000057A8: D86C4540 5D00000A
	ds_read_b32 v94, v10 offset:17792                          // 0000000057B0: D86C4580 5E00000A
	ds_read_b32 v95, v10 offset:17856                          // 0000000057B8: D86C45C0 5F00000A
	s_waitcnt lgkmcnt(0)                                       // 0000000057C0: BF8CC07F
	v_mov_b32_e32 v47, 0                                       // 0000000057C4: 7E5E0280
	v_add_f32_e32 v47, v80, v47                                // 0000000057C8: 025E5F50
	v_add_f32_e32 v47, v81, v47                                // 0000000057CC: 025E5F51
	v_add_f32_e32 v47, v82, v47                                // 0000000057D0: 025E5F52
	v_add_f32_e32 v47, v83, v47                                // 0000000057D4: 025E5F53
	v_add_f32_e32 v47, v84, v47                                // 0000000057D8: 025E5F54
	v_add_f32_e32 v47, v85, v47                                // 0000000057DC: 025E5F55
	v_add_f32_e32 v47, v86, v47                                // 0000000057E0: 025E5F56
	v_add_f32_e32 v47, v87, v47                                // 0000000057E4: 025E5F57
	v_add_f32_e32 v47, v88, v47                                // 0000000057E8: 025E5F58
	v_add_f32_e32 v47, v89, v47                                // 0000000057EC: 025E5F59
	v_add_f32_e32 v47, v90, v47                                // 0000000057F0: 025E5F5A
	v_add_f32_e32 v47, v91, v47                                // 0000000057F4: 025E5F5B
	v_add_f32_e32 v47, v92, v47                                // 0000000057F8: 025E5F5C
	v_add_f32_e32 v47, v93, v47                                // 0000000057FC: 025E5F5D
	v_add_f32_e32 v47, v94, v47                                // 000000005800: 025E5F5E
	v_add_f32_e32 v47, v95, v47                                // 000000005804: 025E5F5F
	s_nop 1                                                    // 000000005808: BF800001
	v_mov_b32_dpp v41, v47 row_ror:8 row_mask:0xf bank_mask:0xf// 00000000580C: 7E5202FA FF01282F
	v_add_f32_e32 v47, v47, v41                                // 000000005814: 025E532F
	v_rcp_f32_e32 v47, v47                                     // 000000005818: 7E5E452F
	s_nop 1                                                    // 00000000581C: BF800001
	v_mul_f32_e32 v224, v47, v224                              // 000000005820: 0BC1C12F
	v_mul_f32_e32 v225, v47, v225                              // 000000005824: 0BC3C32F
	v_mul_f32_e32 v226, v47, v226                              // 000000005828: 0BC5C52F
	v_mul_f32_e32 v227, v47, v227                              // 00000000582C: 0BC7C72F
	v_cmp_u_f32_e64 s[40:41], v224, v224                       // 000000005830: D0480028 0003C1E0
	v_add3_u32 v21, v224, v24, 1                               // 000000005838: D1FF0015 020631E0
	v_cndmask_b32_e64 v41, v21, v23, s[40:41]                  // 000000005840: D1000029 00A22F15
	v_cmp_u_f32_e64 s[40:41], v225, v225                       // 000000005848: D0480028 0003C3E1
	v_add3_u32 v21, v225, v24, 1                               // 000000005850: D1FF0015 020631E1
	v_cndmask_b32_e64 v42, v21, v23, s[40:41]                  // 000000005858: D100002A 00A22F15
	v_perm_b32 v224, v42, v41, s52                             // 000000005860: D1ED00E0 00D2532A
	v_cmp_u_f32_e64 s[40:41], v226, v226                       // 000000005868: D0480028 0003C5E2
	v_add3_u32 v21, v226, v24, 1                               // 000000005870: D1FF0015 020631E2
	v_cndmask_b32_e64 v41, v21, v23, s[40:41]                  // 000000005878: D1000029 00A22F15
	v_cmp_u_f32_e64 s[40:41], v227, v227                       // 000000005880: D0480028 0003C7E3
	v_add3_u32 v21, v227, v24, 1                               // 000000005888: D1FF0015 020631E3
	v_cndmask_b32_e64 v42, v21, v23, s[40:41]                  // 000000005890: D100002A 00A22F15
	v_perm_b32 v225, v42, v41, s52                             // 000000005898: D1ED00E1 00D2532A
	s_nop 1                                                    // 0000000058A0: BF800001
	v_mov_b32_dpp v226, v224 row_shl:8 row_mask:0xf bank_mask:0xf bound_ctrl:1// 0000000058A4: 7FC402FA FF0908E0
	v_and_b32_e32 v224, v224, v9                               // 0000000058AC: 27C013E0
	v_mov_b32_dpp v227, v225 row_shl:8 row_mask:0xf bank_mask:0xf bound_ctrl:1// 0000000058B0: 7FC602FA FF0908E1
	v_and_b32_e32 v225, v225, v9                               // 0000000058B8: 27C213E1
	v_lshrrev_b32_e32 v41, 4, v0                               // 0000000058BC: 20520084
	v_mul_i32_i24_e32 v5, 34, v41                              // 0000000058C0: 0C0A52A2
	v_and_b32_e32 v41, 15, v0                                  // 0000000058C4: 2652008F
	v_mul_i32_i24_e32 v42, 2, v41                              // 0000000058C8: 0C545282
	v_add_u32_e32 v5, v42, v5                                  // 0000000058CC: 680A0B2A
	s_mul_i32 s60, s7, 0x88                                    // 0000000058D0: 923CFF07 00000088
	v_add_u32_e32 v5, s60, v5                                  // 0000000058D8: 680A0A3C
	v_lshlrev_b32_e32 v5, 2, v5                                // 0000000058DC: 240A0A82
	ds_write_b64 v5, v[224:225] offset:41472                   // 0000000058E0: D89AA200 0000E005
	ds_write_b64 v5, v[226:227] offset:43648                   // 0000000058E8: D89AAA80 0000E205
	v_lshrrev_b32_e32 v41, 1, v0                               // 0000000058F0: 20520081
	v_mul_i32_i24_e32 v5, 34, v41                              // 0000000058F4: 0C0A52A2
	v_and_b32_e32 v42, 1, v0                                   // 0000000058F8: 26540081
	v_add_u32_e32 v5, v42, v5                                  // 0000000058FC: 680A0B2A
	s_mul_i32 s60, s7, 2                                       // 000000005900: 923C8207
	v_add_u32_e32 v5, s60, v5                                  // 000000005904: 680A0A3C
	v_lshlrev_b32_e32 v5, 2, v5                                // 000000005908: 240A0A82
	s_waitcnt lgkmcnt(0)                                       // 00000000590C: BF8CC07F
	s_barrier                                                  // 000000005910: BF8A0000
	ds_read_b32 v224, v5 offset:41472                          // 000000005914: D86CA200 E0000005
	ds_read_b32 v225, v5 offset:41504                          // 00000000591C: D86CA220 E1000005
	s_waitcnt lgkmcnt(0)                                       // 000000005924: BF8CC07F
	buffer_store_dword v224, v8, s[8:11], 0 offen              // 000000005928: E0701000 8002E008
	buffer_store_dword v225, v8, s[8:11], 0 offen offset:1024  // 000000005930: E0701400 8002E108
	s_mul_i32 s60, 0x100, s77                                  // 000000005938: 923C4DFF 00000100
	s_add_u32 s8, s60, s8                                      // 000000005940: 8008083C
	s_addc_u32 s9, 0, s9                                       // 000000005944: 82090980
	s_branch label_467A                                        // 000000005948: BF8238A7

000000000000594c <label_0DD3>:
	s_mul_i32 s60, s3, s65                                     // 00000000594C: 923C4103
	s_mul_i32 s60, s60, 4                                      // 000000005950: 923C843C
	s_add_u32 s24, s60, s24                                    // 000000005954: 8018183C
	s_addc_u32 s25, 0, s25                                     // 000000005958: 82191980
	s_mov_b32 s56, 64                                          // 00000000595C: BEB800C0
	s_add_u32 s73, s72, 15                                     // 000000005960: 80498F48
	s_lshr_b32 s73, s73, 4                                     // 000000005964: 8F498449
	s_mul_i32 s60, s73, 4                                      // 000000005968: 923C8449
	s_mov_b32 s26, s60                                         // 00000000596C: BE9A003C
	s_sub_u32 s89, s72, s86                                    // 000000005970: 80D95648
	s_mov_b32 s90, 0xff                                        // 000000005974: BEDA00FF 000000FF
	s_mov_b32 s91, 0x100                                       // 00000000597C: BEDB00FF 00000100
	v_and_b32_e32 v42, 3, v0                                   // 000000005984: 26540083
	v_cmp_eq_u32_e64 s[60:61], 0, v42                          // 000000005988: D0CA003C 00025480
	v_and_b32_e32 v41, 12, v0                                  // 000000005990: 2652008C
	v_add_u32_e32 v1, s7, v41                                  // 000000005994: 68025207
	v_cndmask_b32_e64 v1, 0, v1, s[60:61]                      // 000000005998: D1000001 00F20280
	v_and_b32_e32 v42, 3, v0                                   // 0000000059A0: 26540083
	v_cmp_eq_u32_e64 s[60:61], 1, v42                          // 0000000059A4: D0CA003C 00025481
	v_lshrrev_b32_e32 v41, 4, v0                               // 0000000059AC: 20520084
	v_and_b32_e32 v42, 12, v0                                  // 0000000059B0: 2654008C
	v_add_u32_e32 v41, v42, v41                                // 0000000059B4: 6852532A
	v_cndmask_b32_e64 v41, 0, v41, s[60:61]                    // 0000000059B8: D1000029 00F25280
	v_add_u32_e32 v1, v1, v41                                  // 0000000059C0: 68025301
	v_lshlrev_b32_e32 v1, 2, v1                                // 0000000059C4: 24020282
	buffer_load_dword v19, v1, s[24:27], 0 offen               // 0000000059C8: E0501000 80061301
	v_add_u32_e32 v1, s56, v1                                  // 0000000059D0: 68020238
	buffer_load_dword v20, v1, s[24:27], 0 offen               // 0000000059D4: E0501000 80061401
	s_cmp_le_u32 s73, 32                                       // 0000000059DC: BF0BA049
	s_cselect_b32 s56, 0, s56                                  // 0000000059E0: 85383880
	s_mul_i32 s60, s2, s67                                     // 0000000059E4: 923C4302
	s_mul_i32 s61, s84, s74                                    // 0000000059E8: 923D4A54
	s_add_u32 s60, s60, s61                                    // 0000000059EC: 803C3D3C
	s_add_u32 s12, s60, s12                                    // 0000000059F0: 800C0C3C
	s_addc_u32 s13, 0, s13                                     // 0000000059F4: 820D0D80
	s_mul_i32 s60, s7, 0x108                                   // 0000000059F8: 923CFF07 00000108
	s_add_u32 m0, 0, s60                                       // 000000005A00: 807C3C80
	s_mul_i32 s60, s7, 0x100                                   // 000000005A04: 923CFF07 00000100
	v_lshlrev_b32_e32 v41, 2, v0                               // 000000005A0C: 24520082
	v_add_u32_e64 v41, v41, s60                                // 000000005A10: D1340029 00007929
	v_add_u32_e32 v42, 0x400, v41                              // 000000005A18: 685452FF 00000400
	buffer_load_dword v41, s[12:15], 0 offen lds               // 000000005A20: E0511000 80030029
	s_mul_i32 s60, 4, 0x108                                    // 000000005A28: 923CFF84 00000108
	s_add_u32 m0, m0, s60                                      // 000000005A30: 807C3C7C
	buffer_load_dword v42, s[12:15], 0 offen lds               // 000000005A34: E0511000 8003002A
	s_mul_i32 s60, 4, 0x108                                    // 000000005A3C: 923CFF84 00000108
	s_add_u32 m0, m0, s60                                      // 000000005A44: 807C3C7C
	s_add_u32 s12, s74, s12                                    // 000000005A48: 800C0C4A
	s_addc_u32 s13, 0, s13                                     // 000000005A4C: 820D0D80
	buffer_load_dword v41, s[12:15], 0 offen lds               // 000000005A50: E0511000 80030029
	s_mul_i32 s60, 4, 0x108                                    // 000000005A58: 923CFF84 00000108
	s_add_u32 m0, m0, s60                                      // 000000005A60: 807C3C7C
	buffer_load_dword v42, s[12:15], 0 offen lds               // 000000005A64: E0511000 8003002A
	s_mul_i32 s60, 4, 0x108                                    // 000000005A6C: 923CFF84 00000108
	s_add_u32 m0, m0, s60                                      // 000000005A74: 807C3C7C
	v_lshrrev_b32_e32 v41, 4, v0                               // 000000005A78: 20520084
	v_lshlrev_b32_e32 v41, 2, v41                              // 000000005A7C: 24525282
	v_and_b32_e32 v42, 3, v0                                   // 000000005A80: 26540083
	v_add_u32_e32 v41, v42, v41                                // 000000005A84: 6852532A
	v_lshlrev_b32_e32 v74, 2, v41                              // 000000005A88: 24945282
	v_mov_b32_e32 v75, v74                                     // 000000005A8C: 7E96034A
	s_mul_i32 s60, s2, 64                                      // 000000005A90: 923CC002
	s_add_u32 s32, s60, s32                                    // 000000005A94: 8020203C
	s_addc_u32 s33, 0, s33                                     // 000000005A98: 82212180
	s_add_u32 s36, s60, s36                                    // 000000005A9C: 8024243C
	s_addc_u32 s37, 0, s37                                     // 000000005AA0: 82252580
	s_mul_i32 s60, s2, s76                                     // 000000005AA4: 923C4C02
	s_mul_i32 s61, s84, s75                                    // 000000005AA8: 923D4B54
	s_add_u32 s60, s60, s61                                    // 000000005AAC: 803C3D3C
	s_add_u32 s8, s60, s8                                      // 000000005AB0: 8008083C
	s_addc_u32 s9, 0, s9                                       // 000000005AB4: 82090980
	s_mov_b32 s70, 0                                           // 000000005AB8: BEC60080
	s_and_b32 s71, s72, 0xffffff00                             // 000000005ABC: 8647FF48 FFFFFF00
	s_mov_b32 s42, 0xff00ff00                                  // 000000005AC4: BEAA00FF FF00FF00
	s_mov_b32 s43, 0xff00ff00                                  // 000000005ACC: BEAB00FF FF00FF00
	s_mov_b32 s44, 0xf0f0f0f0                                  // 000000005AD4: BEAC00FF F0F0F0F0
	s_mov_b32 s45, 0xf0f0f0f0                                  // 000000005ADC: BEAD00FF F0F0F0F0
	s_mov_b32 s78, 0xff00ff                                    // 000000005AE4: BECE00FF 00FF00FF
	s_mov_b32 s79, 0xff00ff                                    // 000000005AEC: BECF00FF 00FF00FF
	v_mul_i32_i24_e64 v78, 64, s66                             // 000000005AF4: D106004E 000084C0
	v_mov_b32_e32 v68, s68                                     // 000000005AFC: 7E880244
	s_mov_b32 s52, 0x7060302                                   // 000000005B00: BEB400FF 07060302
	s_mov_b32 s53, 0x400                                       // 000000005B08: BEB500FF 00000400
	s_mov_b32 s54, 0x40100                                     // 000000005B10: BEB600FF 00040100
	s_mov_b32 s55, 0x4020100                                   // 000000005B18: BEB700FF 04020100
	s_mov_b32 s6, 0x3fb8aa3b                                   // 000000005B20: BE8600FF 3FB8AA3B
	v_mov_b32_e32 v14, 0xff800000                              // 000000005B28: 7E1C02FF FF800000
	v_mov_b32_e32 v63, 0                                       // 000000005B30: 7E7E0280
	v_mov_b32_e32 v47, 0                                       // 000000005B34: 7E5E0280
	v_mov_b32_e32 v58, 0                                       // 000000005B38: 7E740280
	v_mov_b32_e32 v22, 0xffff0000                              // 000000005B3C: 7E2C02FF FFFF0000
	v_mov_b32_e32 v23, 0x7fff0000                              // 000000005B44: 7E2E02FF 7FFF0000
	v_mov_b32_e32 v24, 0x7fff                                  // 000000005B4C: 7E3002FF 00007FFF
	v_add_u32_e32 v1, s56, v1                                  // 000000005B54: 68020238
	v_and_b32_e32 v10, 15, v0                                  // 000000005B58: 2614008F
	v_lshlrev_b32_e32 v10, 2, v10                              // 000000005B5C: 24141482
	v_lshlrev_b32_e32 v11, 2, v0                               // 000000005B60: 24160082
	s_mul_i32 s60, 0x100, s7                                   // 000000005B64: 923C07FF 00000100
	v_add_u32_e32 v11, s60, v11                                // 000000005B6C: 6816163C
	v_lshrrev_b32_e32 v41, 4, v0                               // 000000005B70: 20520084
	v_lshlrev_b32_e32 v42, 6, v41                              // 000000005B74: 24545286
	v_and_b32_e32 v41, 15, v0                                  // 000000005B78: 2652008F
	v_lshlrev_b32_e32 v41, 1, v41                              // 000000005B7C: 24525281
	v_add_u32_e32 v42, v41, v42                                // 000000005B80: 68545529
	v_lshlrev_b32_e32 v12, 2, v42                              // 000000005B84: 24185482
	v_lshrrev_b32_e32 v41, 5, v0                               // 000000005B88: 20520085
	v_lshlrev_b32_e32 v42, 5, v41                              // 000000005B8C: 24545285
	v_and_b32_e32 v41, 31, v0                                  // 000000005B90: 2652009F
	v_lshrrev_b32_e32 v43, 4, v41                              // 000000005B94: 20565284
	v_add_u32_e32 v42, v43, v42                                // 000000005B98: 6854552B
	v_and_b32_e32 v41, 15, v0                                  // 000000005B9C: 2652008F
	v_lshlrev_b32_e32 v41, 1, v41                              // 000000005BA0: 24525281
	v_add_u32_e32 v42, v41, v42                                // 000000005BA4: 68545529
	v_lshlrev_b32_e32 v41, 2, v42                              // 000000005BA8: 24525482
	s_mul_i32 s60, 0x100, s7                                   // 000000005BAC: 923C07FF 00000100
	v_add_u32_e64 v13, v41, s60                                // 000000005BB4: D134000D 00007929
	v_lshlrev_b32_e32 v6, 4, v0                                // 000000005BBC: 240C0084
	s_mul_i32 s60, s2, s69                                     // 000000005BC0: 923C4502
	s_add_u32 s16, s60, s16                                    // 000000005BC4: 8010103C
	s_addc_u32 s17, 0, s17                                     // 000000005BC8: 82111180
	v_and_b32_e32 v41, 15, v0                                  // 000000005BCC: 2652008F
	v_lshlrev_b32_e32 v7, 4, v41                               // 000000005BD0: 240E5284
	s_mul_i32 s61, s2, s69                                     // 000000005BD4: 923D4502
	s_mul_i32 s60, s7, 0x100                                   // 000000005BD8: 923CFF07 00000100
	s_add_u32 s60, s60, s61                                    // 000000005BE0: 803C3D3C
	s_add_u32 s20, s60, s20                                    // 000000005BE4: 8014143C
	s_addc_u32 s21, 0, s21                                     // 000000005BE8: 82151580
	s_waitcnt vmcnt(4)                                         // 000000005BEC: BF8C0F74
	v_mul_u32_u24_dpp v41, v19, v68 row_newbcast:0 row_mask:0xf bank_mask:0xf// 000000005BF0: 105288FA FF015013
	v_mul_u32_u24_dpp v42, v19, v68 row_newbcast:4 row_mask:0xf bank_mask:0xf// 000000005BF8: 105488FA FF015413
	v_mul_u32_u24_dpp v43, v19, v68 row_newbcast:8 row_mask:0xf bank_mask:0xf// 000000005C00: 105688FA FF015813
	v_mul_u32_u24_dpp v44, v19, v68 row_newbcast:12 row_mask:0xf bank_mask:0xf// 000000005C08: 105888FA FF015C13
	v_add_u32_e32 v25, v41, v6                                 // 000000005C10: 68320D29
	v_add_u32_e32 v26, v42, v6                                 // 000000005C14: 68340D2A
	v_add_u32_e32 v27, v43, v6                                 // 000000005C18: 68360D2B
	v_add_u32_e32 v28, v44, v6                                 // 000000005C1C: 68380D2C
	v_mul_u32_u24_dpp v41, v19, v68 row_newbcast:1 row_mask:0xf bank_mask:0xf// 000000005C20: 105288FA FF015113
	v_mul_u32_u24_dpp v42, v19, v68 row_newbcast:5 row_mask:0xf bank_mask:0xf// 000000005C28: 105488FA FF015513
	v_mul_u32_u24_dpp v43, v19, v68 row_newbcast:9 row_mask:0xf bank_mask:0xf// 000000005C30: 105688FA FF015913
	v_mul_u32_u24_dpp v44, v19, v68 row_newbcast:13 row_mask:0xf bank_mask:0xf// 000000005C38: 105888FA FF015D13
	v_add_u32_e32 v33, v41, v7                                 // 000000005C40: 68420F29
	v_add_u32_e32 v34, v42, v7                                 // 000000005C44: 68440F2A
	v_add_u32_e32 v35, v43, v7                                 // 000000005C48: 68460F2B
	v_add_u32_e32 v36, v44, v7                                 // 000000005C4C: 68480F2C
	v_mul_u32_u24_dpp v41, v19, v78 quad_perm:[0,0,0,0] row_mask:0xf bank_mask:0xf// 000000005C50: 10529CFA FF000013
	v_add_u32_e32 v2, v41, v74                                 // 000000005C58: 68049529
	v_mul_u32_u24_dpp v41, v19, v78 quad_perm:[0,0,0,0] row_mask:0xf bank_mask:0xf// 000000005C5C: 10529CFA FF000013
	v_add_u32_e32 v70, v41, v75                                // 000000005C64: 688C9729
	buffer_load_dword v52, v2, s[32:35], 0 offen               // 000000005C68: E0501000 80083402
	buffer_load_dwordx4 a[0:3], v25, s[16:19], 0 offen         // 000000005C70: E05C1000 80840019
	buffer_load_dwordx4 a[4:7], v25, s[16:19], 0 offen offset:1024// 000000005C78: E05C1400 80840419
	buffer_load_dwordx4 a[8:11], v26, s[16:19], 0 offen        // 000000005C80: E05C1000 8084081A
	buffer_load_dwordx4 a[12:15], v26, s[16:19], 0 offen offset:1024// 000000005C88: E05C1400 80840C1A
	buffer_load_dwordx4 a[16:19], v27, s[16:19], 0 offen       // 000000005C90: E05C1000 8084101B
	buffer_load_dwordx4 a[20:23], v27, s[16:19], 0 offen offset:1024// 000000005C98: E05C1400 8084141B
	buffer_load_dwordx4 a[24:27], v28, s[16:19], 0 offen       // 000000005CA0: E05C1000 8084181C
	buffer_load_dwordx4 a[28:31], v28, s[16:19], 0 offen offset:1024// 000000005CA8: E05C1400 80841C1C
	buffer_load_dword v72, v70, s[36:39], 0 offen              // 000000005CB0: E0501000 80094846
	buffer_load_dwordx4 a[64:67], v33, s[20:23], 0 offen       // 000000005CB8: E05C1000 80854021
	buffer_load_dwordx4 a[68:71], v34, s[20:23], 0 offen       // 000000005CC0: E05C1000 80854422
	buffer_load_dwordx4 a[72:75], v35, s[20:23], 0 offen       // 000000005CC8: E05C1000 80854823
	buffer_load_dwordx4 a[76:79], v36, s[20:23], 0 offen       // 000000005CD0: E05C1000 80854C24
	buffer_load_dwordx4 a[80:83], v33, s[20:23], 0 offen offset:1024// 000000005CD8: E05C1400 80855021
	buffer_load_dwordx4 a[84:87], v34, s[20:23], 0 offen offset:1024// 000000005CE0: E05C1400 80855422
	buffer_load_dwordx4 a[88:91], v35, s[20:23], 0 offen offset:1024// 000000005CE8: E05C1400 80855823
	buffer_load_dwordx4 a[92:95], v36, s[20:23], 0 offen offset:1024// 000000005CF0: E05C1400 80855C24
	v_lshrrev_b32_e32 v41, 4, v0                               // 000000005CF8: 20520084
	v_lshlrev_b32_e32 v42, 1, v41                              // 000000005CFC: 24545281
	v_and_b32_e32 v41, 15, v0                                  // 000000005D00: 2652008F
	v_mul_i32_i24_e32 v41, 0x42, v41                           // 000000005D04: 0C5252FF 00000042
	v_add_u32_e32 v42, v41, v42                                // 000000005D0C: 68545529
	v_lshlrev_b32_e32 v4, 2, v42                               // 000000005D10: 24085482
	s_mul_i32 s60, s7, 32                                      // 000000005D14: 923CA007
	v_add_u32_e32 v4, s60, v4                                  // 000000005D18: 6808083C
	s_waitcnt vmcnt(16) lgkmcnt(0)                             // 000000005D1C: BF8C4070
	s_barrier                                                  // 000000005D20: BF8A0000
	ds_read_b64 v[96:97], v4                                   // 000000005D24: D8EC0000 60000004
	ds_read_b64 v[100:101], v4 offset:128                      // 000000005D2C: D8EC0080 64000004
	s_waitcnt lgkmcnt(0)                                       // 000000005D34: BF8CC07F
	v_and_b32_e32 v99, 0xffff0000, v97                         // 000000005D38: 26C6C2FF FFFF0000
	v_lshlrev_b32_e32 v98, 16, v97                             // 000000005D40: 24C4C290
	v_and_b32_e32 v97, 0xffff0000, v96                         // 000000005D44: 26C2C0FF FFFF0000
	v_lshlrev_b32_e32 v96, 16, v96                             // 000000005D4C: 24C0C090
	v_and_b32_e32 v103, 0xffff0000, v101                       // 000000005D50: 26CECAFF FFFF0000
	v_lshlrev_b32_e32 v102, 16, v101                           // 000000005D58: 24CCCA90
	v_and_b32_e32 v101, 0xffff0000, v100                       // 000000005D5C: 26CAC8FF FFFF0000
	v_lshlrev_b32_e32 v100, 16, v100                           // 000000005D64: 24C8C890
	v_mov_b32_e32 v62, 0x358637bd                              // 000000005D68: 7E7C02FF 358637BD
	v_max3_f32 v62, |v96|, |v97|, v62                          // 000000005D70: D1D3033E 04FAC360
	v_max3_f32 v62, |v98|, |v99|, v62                          // 000000005D78: D1D3033E 04FAC762
	v_max3_f32 v62, |v100|, |v101|, v62                        // 000000005D80: D1D3033E 04FACB64
	v_max3_f32 v62, |v102|, |v103|, v62                        // 000000005D88: D1D3033E 04FACF66
	ds_write_b32 v11, v62 offset:16896                         // 000000005D90: D81A4200 00003E0B
	s_waitcnt lgkmcnt(0)                                       // 000000005D98: BF8CC07F
	s_barrier                                                  // 000000005D9C: BF8A0000
	ds_read_b32 v80, v10 offset:16896                          // 000000005DA0: D86C4200 5000000A
	ds_read_b32 v81, v10 offset:16960                          // 000000005DA8: D86C4240 5100000A
	ds_read_b32 v82, v10 offset:17024                          // 000000005DB0: D86C4280 5200000A
	ds_read_b32 v83, v10 offset:17088                          // 000000005DB8: D86C42C0 5300000A
	ds_read_b32 v84, v10 offset:17152                          // 000000005DC0: D86C4300 5400000A
	ds_read_b32 v85, v10 offset:17216                          // 000000005DC8: D86C4340 5500000A
	ds_read_b32 v86, v10 offset:17280                          // 000000005DD0: D86C4380 5600000A
	ds_read_b32 v87, v10 offset:17344                          // 000000005DD8: D86C43C0 5700000A
	ds_read_b32 v88, v10 offset:17408                          // 000000005DE0: D86C4400 5800000A
	ds_read_b32 v89, v10 offset:17472                          // 000000005DE8: D86C4440 5900000A
	ds_read_b32 v90, v10 offset:17536                          // 000000005DF0: D86C4480 5A00000A
	ds_read_b32 v91, v10 offset:17600                          // 000000005DF8: D86C44C0 5B00000A
	ds_read_b32 v92, v10 offset:17664                          // 000000005E00: D86C4500 5C00000A
	ds_read_b32 v93, v10 offset:17728                          // 000000005E08: D86C4540 5D00000A
	ds_read_b32 v94, v10 offset:17792                          // 000000005E10: D86C4580 5E00000A
	ds_read_b32 v95, v10 offset:17856                          // 000000005E18: D86C45C0 5F00000A
	s_waitcnt lgkmcnt(0)                                       // 000000005E20: BF8CC07F
	v_max3_f32 v62, |v80|, |v81|, v62                          // 000000005E24: D1D3033E 04FAA350
	v_max3_f32 v62, |v82|, |v83|, v62                          // 000000005E2C: D1D3033E 04FAA752
	v_max3_f32 v62, |v84|, |v85|, v62                          // 000000005E34: D1D3033E 04FAAB54
	v_max3_f32 v62, |v86|, |v87|, v62                          // 000000005E3C: D1D3033E 04FAAF56
	v_max3_f32 v62, |v88|, |v89|, v62                          // 000000005E44: D1D3033E 04FAB358
	v_max3_f32 v62, |v90|, |v91|, v62                          // 000000005E4C: D1D3033E 04FAB75A
	v_max3_f32 v62, |v92|, |v93|, v62                          // 000000005E54: D1D3033E 04FABB5C
	v_max3_f32 v62, |v94|, |v95|, v62                          // 000000005E5C: D1D3033E 04FABF5E
	v_rcp_f32_e32 v62, v62                                     // 000000005E64: 7E7C453E
	s_nop 1                                                    // 000000005E68: BF800001
	v_mul_f32_e32 v62, 0x43e00000, v62                         // 000000005E6C: 0A7C7CFF 43E00000
	v_mul_f32_e32 v96, v62, v96                                // 000000005E74: 0AC0C13E
	v_mul_f32_e32 v97, v62, v97                                // 000000005E78: 0AC2C33E
	v_mul_f32_e32 v98, v62, v98                                // 000000005E7C: 0AC4C53E
	v_mul_f32_e32 v99, v62, v99                                // 000000005E80: 0AC6C73E
	v_mul_f32_e32 v100, v62, v100                              // 000000005E84: 0AC8C93E
	v_mul_f32_e32 v101, v62, v101                              // 000000005E88: 0ACACB3E
	v_mul_f32_e32 v102, v62, v102                              // 000000005E8C: 0ACCCD3E
	v_mul_f32_e32 v103, v62, v103                              // 000000005E90: 0ACECF3E
	v_rcp_f32_e32 v54, v62                                     // 000000005E94: 7E6C453E
	v_cvt_pk_fp8_f32 v96, v96, v97                             // 000000005E98: D2A20060 0002C360
	v_cvt_pk_fp8_f32 v96, v98, v99 op_sel:[0,0,1]              // 000000005EA0: D2A24060 0002C762
	v_cvt_pk_fp8_f32 v97, v100, v101                           // 000000005EA8: D2A20061 0002CB64
	v_cvt_pk_fp8_f32 v97, v102, v103 op_sel:[0,0,1]            // 000000005EB0: D2A24061 0002CF66
	ds_write_b32 v13, v96 offset:25088                         // 000000005EB8: D81A6200 0000600D
	ds_write_b32 v13, v97 offset:26112                         // 000000005EC0: D81A6600 0000610D
	s_waitcnt lgkmcnt(0)                                       // 000000005EC8: BF8CC07F
	s_barrier                                                  // 000000005ECC: BF8A0000
	ds_read_b64 v[96:97], v12 offset:25088                     // 000000005ED0: D8EC6200 6000000C
	ds_read_b64 v[98:99], v12 offset:25216                     // 000000005ED8: D8EC6280 6200000C
	ds_read_b64 v[100:101], v12 offset:26112                   // 000000005EE0: D8EC6600 6400000C
	ds_read_b64 v[102:103], v12 offset:26240                   // 000000005EE8: D8EC6680 6600000C
	v_mov_b32_e32 v224, 0                                      // 000000005EF0: 7FC00280
	v_mov_b32_e32 v225, 0                                      // 000000005EF4: 7FC20280
	v_mov_b32_e32 v226, 0                                      // 000000005EF8: 7FC40280
	v_mov_b32_e32 v227, 0                                      // 000000005EFC: 7FC60280
	v_mov_b32_e32 v228, 0                                      // 000000005F00: 7FC80280
	v_mov_b32_e32 v229, 0                                      // 000000005F04: 7FCA0280
	v_mov_b32_e32 v230, 0                                      // 000000005F08: 7FCC0280
	v_mov_b32_e32 v231, 0                                      // 000000005F0C: 7FCE0280
	v_mov_b32_e32 v192, 0                                      // 000000005F10: 7F800280
	v_mov_b32_e32 v193, 0                                      // 000000005F14: 7F820280
	v_mov_b32_e32 v194, 0                                      // 000000005F18: 7F840280
	v_mov_b32_e32 v195, 0                                      // 000000005F1C: 7F860280
	v_mov_b32_e32 v196, 0                                      // 000000005F20: 7F880280
	v_mov_b32_e32 v197, 0                                      // 000000005F24: 7F8A0280
	v_mov_b32_e32 v198, 0                                      // 000000005F28: 7F8C0280
	v_mov_b32_e32 v199, 0                                      // 000000005F2C: 7F8E0280
	s_waitcnt vmcnt(8) lgkmcnt(0)                              // 000000005F30: BF8C0078
	s_barrier                                                  // 000000005F34: BF8A0000
	s_cmp_lt_u32 s73, 16                                       // 000000005F38: BF0A9049
	s_cbranch_scc1 label_1A67                                  // 000000005F3C: BF850B17
	s_cmp_lt_i32 s7, 2                                         // 000000005F40: BF048207
	s_cbranch_scc0 label_14DE                                  // 000000005F44: BF84058C

0000000000005f48 <label_0F52>:
	s_waitcnt vmcnt(8) lgkmcnt(0)                              // 000000005F48: BF8C0078
	v_mul_u32_u24_dpp v41, v20, v68 row_newbcast:0 row_mask:0xf bank_mask:0xf// 000000005F4C: 105288FA FF015014
	v_mul_u32_u24_dpp v42, v20, v68 row_newbcast:4 row_mask:0xf bank_mask:0xf// 000000005F54: 105488FA FF015414
	v_mul_u32_u24_dpp v43, v20, v68 row_newbcast:8 row_mask:0xf bank_mask:0xf// 000000005F5C: 105688FA FF015814
	v_mul_u32_u24_dpp v44, v20, v68 row_newbcast:12 row_mask:0xf bank_mask:0xf// 000000005F64: 105888FA FF015C14
	v_add_u32_e32 v29, v41, v6                                 // 000000005F6C: 683A0D29
	v_add_u32_e32 v30, v42, v6                                 // 000000005F70: 683C0D2A
	v_add_u32_e32 v31, v43, v6                                 // 000000005F74: 683E0D2B
	v_add_u32_e32 v32, v44, v6                                 // 000000005F78: 68400D2C
	v_mul_u32_u24_dpp v41, v20, v78 quad_perm:[0,0,0,0] row_mask:0xf bank_mask:0xf// 000000005F7C: 10529CFA FF000014
	v_add_u32_e32 v3, v41, v74                                 // 000000005F84: 68069529
	v_mul_u32_u24_dpp v41, v20, v78 quad_perm:[0,0,0,0] row_mask:0xf bank_mask:0xf// 000000005F88: 10529CFA FF000014
	v_add_u32_e32 v71, v41, v75                                // 000000005F90: 688E9729
	v_mfma_f32_16x16x32_fp8_fp8 v[128:131], a[0:1], v[96:97], 0// 000000005F94: D3F30080 0A02C100
	v_mfma_f32_16x16x32_fp8_fp8 v[128:131], a[2:3], v[98:99], v[128:131]// 000000005F9C: D3F30080 0E02C502
	buffer_load_dwordx4 a[32:35], v29, s[16:19], 0 offen       // 000000005FA4: E05C1000 8084201D
	v_mfma_f32_16x16x32_fp8_fp8 v[128:131], a[4:5], v[100:101], v[128:131]// 000000005FAC: D3F30080 0E02C904
	v_mfma_f32_16x16x32_fp8_fp8 v[128:131], a[6:7], v[102:103], v[128:131]// 000000005FB4: D3F30080 0E02CD06
	buffer_load_dword v19, v1, s[24:27], 0 offen               // 000000005FBC: E0501000 80061301
	v_mfma_f32_16x16x32_fp8_fp8 v[132:135], a[8:9], v[96:97], 0// 000000005FC4: D3F30084 0A02C108
	v_mfma_f32_16x16x32_fp8_fp8 v[132:135], a[10:11], v[98:99], v[132:135]// 000000005FCC: D3F30084 0E12C50A
	buffer_load_dwordx4 a[36:39], v29, s[16:19], 0 offen offset:1024// 000000005FD4: E05C1400 8084241D
	v_mfma_f32_16x16x32_fp8_fp8 v[132:135], a[12:13], v[100:101], v[132:135]// 000000005FDC: D3F30084 0E12C90C
	v_mfma_f32_16x16x32_fp8_fp8 v[132:135], a[14:15], v[102:103], v[132:135]// 000000005FE4: D3F30084 0E12CD0E
	v_mfma_f32_16x16x32_fp8_fp8 v[136:139], a[16:17], v[96:97], 0// 000000005FEC: D3F30088 0A02C110
	v_mfma_f32_16x16x32_fp8_fp8 v[136:139], a[18:19], v[98:99], v[136:139]// 000000005FF4: D3F30088 0E22C512
	buffer_load_dwordx4 a[40:43], v30, s[16:19], 0 offen       // 000000005FFC: E05C1000 8084281E
	v_mfma_f32_16x16x32_fp8_fp8 v[136:139], a[20:21], v[100:101], v[136:139]// 000000006004: D3F30088 0E22C914
	v_mfma_f32_16x16x32_fp8_fp8 v[136:139], a[22:23], v[102:103], v[136:139]// 00000000600C: D3F30088 0E22CD16
	v_mfma_f32_16x16x32_fp8_fp8 v[140:143], a[24:25], v[96:97], 0// 000000006014: D3F3008C 0A02C118
	v_mfma_f32_16x16x32_fp8_fp8 v[140:143], a[26:27], v[98:99], v[140:143]// 00000000601C: D3F3008C 0E32C51A
	buffer_load_dwordx4 a[44:47], v30, s[16:19], 0 offen offset:1024// 000000006024: E05C1400 80842C1E
	v_mfma_f32_16x16x32_fp8_fp8 v[140:143], a[28:29], v[100:101], v[140:143]// 00000000602C: D3F3008C 0E32C91C
	v_mfma_f32_16x16x32_fp8_fp8 v[140:143], a[30:31], v[102:103], v[140:143]// 000000006034: D3F3008C 0E32CD1E
	buffer_load_dword v53, v3, s[32:35], 0 offen               // 00000000603C: E0501000 80083503
	v_mov_b32_dpp v41, v52 row_shr:4 row_mask:0xf bank_mask:0xf// 000000006044: 7E5202FA FF011434
	v_mov_b32_dpp v42, v52 row_shl:4 row_mask:0xf bank_mask:0xf// 00000000604C: 7E5402FA FF010434
	v_cndmask_b32_e64 v248, v52, v41, s[44:45]                 // 000000006054: D10000F8 00B25334
	v_cndmask_b32_e64 v249, v42, v52, s[44:45]                 // 00000000605C: D10000F9 00B2692A
	v_mov_b32_dpp v41, v248 row_shr:8 row_mask:0xf bank_mask:0xf// 000000006064: 7E5202FA FF0118F8
	v_mov_b32_dpp v42, v248 row_shl:8 row_mask:0xf bank_mask:0xf// 00000000606C: 7E5402FA FF0108F8
	v_mov_b32_dpp v43, v249 row_shr:8 row_mask:0xf bank_mask:0xf// 000000006074: 7E5602FA FF0118F9
	v_mov_b32_dpp v44, v249 row_shl:8 row_mask:0xf bank_mask:0xf// 00000000607C: 7E5802FA FF0108F9
	v_mov_b32_e32 v45, v248                                    // 000000006084: 7E5A03F8
	v_mov_b32_e32 v46, v249                                    // 000000006088: 7E5C03F9
	v_cndmask_b32_e64 v248, v45, v41, s[42:43]                 // 00000000608C: D10000F8 00AA532D
	v_cndmask_b32_e64 v250, v45, v42, s[78:79]                 // 000000006094: D10000FA 013A552D
	v_cndmask_b32_e64 v249, v46, v43, s[42:43]                 // 00000000609C: D10000F9 00AA572E
	v_cndmask_b32_e64 v251, v46, v44, s[78:79]                 // 0000000060A4: D10000FB 013A592E
	v_mov_b32_dpp v41, v72 row_shr:4 row_mask:0xf bank_mask:0xf// 0000000060AC: 7E5202FA FF011448
	v_mov_b32_dpp v42, v72 row_shl:4 row_mask:0xf bank_mask:0xf// 0000000060B4: 7E5402FA FF010448
	v_cndmask_b32_e64 v252, v72, v41, s[44:45]                 // 0000000060BC: D10000FC 00B25348
	v_cndmask_b32_e64 v253, v42, v72, s[44:45]                 // 0000000060C4: D10000FD 00B2912A
	v_mov_b32_dpp v41, v252 row_shr:8 row_mask:0xf bank_mask:0xf// 0000000060CC: 7E5202FA FF0118FC
	v_mov_b32_dpp v42, v252 row_shl:8 row_mask:0xf bank_mask:0xf// 0000000060D4: 7E5402FA FF0108FC
	v_mov_b32_dpp v43, v253 row_shr:8 row_mask:0xf bank_mask:0xf// 0000000060DC: 7E5602FA FF0118FD
	v_mov_b32_dpp v44, v253 row_shl:8 row_mask:0xf bank_mask:0xf// 0000000060E4: 7E5802FA FF0108FD
	v_mov_b32_e32 v45, v252                                    // 0000000060EC: 7E5A03FC
	v_mov_b32_e32 v46, v253                                    // 0000000060F0: 7E5C03FD
	v_cndmask_b32_e64 v252, v45, v41, s[42:43]                 // 0000000060F4: D10000FC 00AA532D
	v_cndmask_b32_e64 v254, v45, v42, s[78:79]                 // 0000000060FC: D10000FE 013A552D
	v_cndmask_b32_e64 v253, v46, v43, s[42:43]                 // 000000006104: D10000FD 00AA572E
	v_cndmask_b32_e64 v255, v46, v44, s[78:79]                 // 00000000610C: D10000FF 013A592E
	buffer_load_dword v73, v71, s[36:39], 0 offen              // 000000006114: E0501000 80094947
	v_mul_f32_e32 v128, v54, v128                              // 00000000611C: 0B010136
	v_mul_f32_e32 v129, v54, v129                              // 000000006120: 0B030336
	v_mul_f32_e32 v130, v54, v130                              // 000000006124: 0B050536
	v_mul_f32_e32 v131, v54, v131                              // 000000006128: 0B070736
	v_mul_f32_e32 v132, v54, v132                              // 00000000612C: 0B090936
	v_mul_f32_e32 v133, v54, v133                              // 000000006130: 0B0B0B36
	v_mul_f32_e32 v134, v54, v134                              // 000000006134: 0B0D0D36
	v_mul_f32_e32 v135, v54, v135                              // 000000006138: 0B0F0F36
	v_mul_f32_e32 v136, v54, v136                              // 00000000613C: 0B111136
	v_mul_f32_e32 v137, v54, v137                              // 000000006140: 0B131336
	v_mul_f32_e32 v138, v54, v138                              // 000000006144: 0B151536
	v_mul_f32_e32 v139, v54, v139                              // 000000006148: 0B171736
	v_mul_f32_e32 v140, v54, v140                              // 00000000614C: 0B191936
	v_mul_f32_e32 v141, v54, v141                              // 000000006150: 0B1B1B36
	v_mul_f32_e32 v142, v54, v142                              // 000000006154: 0B1D1D36
	v_mul_f32_e32 v143, v54, v143                              // 000000006158: 0B1F1F36
	buffer_load_dwordx4 a[48:51], v31, s[16:19], 0 offen       // 00000000615C: E05C1000 8084301F
	v_mul_f32_dpp v128, v248, v128 quad_perm:[0,0,0,0] row_mask:0xf bank_mask:0xf// 000000006164: 0B0100FA FF0000F8
	v_mul_f32_dpp v129, v248, v129 quad_perm:[1,1,1,1] row_mask:0xf bank_mask:0xf// 00000000616C: 0B0302FA FF0055F8
	v_mul_f32_dpp v130, v248, v130 quad_perm:[2,2,2,2] row_mask:0xf bank_mask:0xf// 000000006174: 0B0504FA FF00AAF8
	v_mul_f32_dpp v131, v248, v131 quad_perm:[3,3,3,3] row_mask:0xf bank_mask:0xf// 00000000617C: 0B0706FA FF00FFF8
	v_mul_f32_dpp v132, v249, v132 quad_perm:[0,0,0,0] row_mask:0xf bank_mask:0xf// 000000006184: 0B0908FA FF0000F9
	v_mul_f32_dpp v133, v249, v133 quad_perm:[1,1,1,1] row_mask:0xf bank_mask:0xf// 00000000618C: 0B0B0AFA FF0055F9
	v_mul_f32_dpp v134, v249, v134 quad_perm:[2,2,2,2] row_mask:0xf bank_mask:0xf// 000000006194: 0B0D0CFA FF00AAF9
	v_mul_f32_dpp v135, v249, v135 quad_perm:[3,3,3,3] row_mask:0xf bank_mask:0xf// 00000000619C: 0B0F0EFA FF00FFF9
	v_mul_f32_dpp v136, v250, v136 quad_perm:[0,0,0,0] row_mask:0xf bank_mask:0xf// 0000000061A4: 0B1110FA FF0000FA
	v_mul_f32_dpp v137, v250, v137 quad_perm:[1,1,1,1] row_mask:0xf bank_mask:0xf// 0000000061AC: 0B1312FA FF0055FA
	v_mul_f32_dpp v138, v250, v138 quad_perm:[2,2,2,2] row_mask:0xf bank_mask:0xf// 0000000061B4: 0B1514FA FF00AAFA
	v_mul_f32_dpp v139, v250, v139 quad_perm:[3,3,3,3] row_mask:0xf bank_mask:0xf// 0000000061BC: 0B1716FA FF00FFFA
	v_mul_f32_dpp v140, v251, v140 quad_perm:[0,0,0,0] row_mask:0xf bank_mask:0xf// 0000000061C4: 0B1918FA FF0000FB
	v_mul_f32_dpp v141, v251, v141 quad_perm:[1,1,1,1] row_mask:0xf bank_mask:0xf// 0000000061CC: 0B1B1AFA FF0055FB
	v_mul_f32_dpp v142, v251, v142 quad_perm:[2,2,2,2] row_mask:0xf bank_mask:0xf// 0000000061D4: 0B1D1CFA FF00AAFB
	v_mul_f32_dpp v143, v251, v143 quad_perm:[3,3,3,3] row_mask:0xf bank_mask:0xf// 0000000061DC: 0B1F1EFA FF00FFFB
	buffer_load_dwordx4 a[52:55], v31, s[16:19], 0 offen offset:1024// 0000000061E4: E05C1400 8084341F
	s_cmp_le_i32 s90, s89                                      // 0000000061EC: BF05595A
	s_cbranch_scc1 label_1070                                  // 0000000061F0: BF850073
	v_mov_b32_e32 v69, 0xff800000                              // 0000000061F4: 7E8A02FF FF800000
	s_mov_b32 s60, s90                                         // 0000000061FC: BEBC005A
	s_add_u32 s61, s89, 0xff                                   // 000000006200: 803DFF59 000000FF
	v_mov_b32_e32 v41, s61                                     // 000000006208: 7E52023D
	v_lshrrev_b32_e32 v240, 4, v0                              // 00000000620C: 21E00084
	v_mul_i32_i24_e32 v240, 4, v240                            // 000000006210: 0DE1E084
	v_add_u32_e32 v240, s60, v240                              // 000000006214: 69E1E03C
	v_and_b32_e32 v42, 15, v0                                  // 000000006218: 2654008F
	v_lshrrev_b32_e32 v42, 3, v42                              // 00000000621C: 20545483
	s_mov_b32 s61, 0                                           // 000000006220: BEBD0080
	s_mul_i32 s60, 16, s7                                      // 000000006224: 923C0790
	v_add_u32_e32 v42, s61, v42                                // 000000006228: 6854543D
	v_sub_u32_e32 v240, v240, v42                              // 00000000622C: 6BE055F0
	v_add_u32_e32 v240, s60, v240                              // 000000006230: 69E1E03C
	v_add_u32_e32 v241, 1, v240                                // 000000006234: 69E3E081
	v_add_u32_e32 v242, 2, v240                                // 000000006238: 69E5E082
	v_add_u32_e32 v243, 3, v240                                // 00000000623C: 69E7E083
	v_cmp_le_u32_e64 s[40:41], v240, v41                       // 000000006240: D0CB0028 000253F0
	v_add_u32_e32 v240, 64, v240                               // 000000006248: 69E1E0C0
	s_nop 0                                                    // 00000000624C: BF800000
	v_cndmask_b32_e64 v128, v69, v128, s[40:41]                // 000000006250: D1000080 00A30145
	v_cmp_le_u32_e64 s[40:41], v241, v41                       // 000000006258: D0CB0028 000253F1
	v_add_u32_e32 v241, 64, v241                               // 000000006260: 69E3E2C0
	s_nop 0                                                    // 000000006264: BF800000
	v_cndmask_b32_e64 v129, v69, v129, s[40:41]                // 000000006268: D1000081 00A30345
	v_cmp_le_u32_e64 s[40:41], v242, v41                       // 000000006270: D0CB0028 000253F2
	v_add_u32_e32 v242, 64, v242                               // 000000006278: 69E5E4C0
	s_nop 0                                                    // 00000000627C: BF800000
	v_cndmask_b32_e64 v130, v69, v130, s[40:41]                // 000000006280: D1000082 00A30545
	v_cmp_le_u32_e64 s[40:41], v243, v41                       // 000000006288: D0CB0028 000253F3
	v_add_u32_e32 v243, 64, v243                               // 000000006290: 69E7E6C0
	s_nop 0                                                    // 000000006294: BF800000
	v_cndmask_b32_e64 v131, v69, v131, s[40:41]                // 000000006298: D1000083 00A30745
	v_cmp_le_u32_e64 s[40:41], v240, v41                       // 0000000062A0: D0CB0028 000253F0
	v_add_u32_e32 v240, 64, v240                               // 0000000062A8: 69E1E0C0
	s_nop 0                                                    // 0000000062AC: BF800000
	v_cndmask_b32_e64 v132, v69, v132, s[40:41]                // 0000000062B0: D1000084 00A30945
	v_cmp_le_u32_e64 s[40:41], v241, v41                       // 0000000062B8: D0CB0028 000253F1
	v_add_u32_e32 v241, 64, v241                               // 0000000062C0: 69E3E2C0
	s_nop 0                                                    // 0000000062C4: BF800000
	v_cndmask_b32_e64 v133, v69, v133, s[40:41]                // 0000000062C8: D1000085 00A30B45
	v_cmp_le_u32_e64 s[40:41], v242, v41                       // 0000000062D0: D0CB0028 000253F2
	v_add_u32_e32 v242, 64, v242                               // 0000000062D8: 69E5E4C0
	s_nop 0                                                    // 0000000062DC: BF800000
	v_cndmask_b32_e64 v134, v69, v134, s[40:41]                // 0000000062E0: D1000086 00A30D45
	v_cmp_le_u32_e64 s[40:41], v243, v41                       // 0000000062E8: D0CB0028 000253F3
	v_add_u32_e32 v243, 64, v243                               // 0000000062F0: 69E7E6C0
	s_nop 0                                                    // 0000000062F4: BF800000
	v_cndmask_b32_e64 v135, v69, v135, s[40:41]                // 0000000062F8: D1000087 00A30F45
	v_cmp_le_u32_e64 s[40:41], v240, v41                       // 000000006300: D0CB0028 000253F0
	v_add_u32_e32 v240, 64, v240                               // 000000006308: 69E1E0C0
	s_nop 0                                                    // 00000000630C: BF800000
	v_cndmask_b32_e64 v136, v69, v136, s[40:41]                // 000000006310: D1000088 00A31145
	v_cmp_le_u32_e64 s[40:41], v241, v41                       // 000000006318: D0CB0028 000253F1
	v_add_u32_e32 v241, 64, v241                               // 000000006320: 69E3E2C0
	s_nop 0                                                    // 000000006324: BF800000
	v_cndmask_b32_e64 v137, v69, v137, s[40:41]                // 000000006328: D1000089 00A31345
	v_cmp_le_u32_e64 s[40:41], v242, v41                       // 000000006330: D0CB0028 000253F2
	v_add_u32_e32 v242, 64, v242                               // 000000006338: 69E5E4C0
	s_nop 0                                                    // 00000000633C: BF800000
	v_cndmask_b32_e64 v138, v69, v138, s[40:41]                // 000000006340: D100008A 00A31545
	v_cmp_le_u32_e64 s[40:41], v243, v41                       // 000000006348: D0CB0028 000253F3
	v_add_u32_e32 v243, 64, v243                               // 000000006350: 69E7E6C0
	s_nop 0                                                    // 000000006354: BF800000
	v_cndmask_b32_e64 v139, v69, v139, s[40:41]                // 000000006358: D100008B 00A31745
	v_cmp_le_u32_e64 s[40:41], v240, v41                       // 000000006360: D0CB0028 000253F0
	v_add_u32_e32 v240, 64, v240                               // 000000006368: 69E1E0C0
	s_nop 0                                                    // 00000000636C: BF800000
	v_cndmask_b32_e64 v140, v69, v140, s[40:41]                // 000000006370: D100008C 00A31945
	v_cmp_le_u32_e64 s[40:41], v241, v41                       // 000000006378: D0CB0028 000253F1
	v_add_u32_e32 v241, 64, v241                               // 000000006380: 69E3E2C0
	s_nop 0                                                    // 000000006384: BF800000
	v_cndmask_b32_e64 v141, v69, v141, s[40:41]                // 000000006388: D100008D 00A31B45
	v_cmp_le_u32_e64 s[40:41], v242, v41                       // 000000006390: D0CB0028 000253F2
	v_add_u32_e32 v242, 64, v242                               // 000000006398: 69E5E4C0
	s_nop 0                                                    // 00000000639C: BF800000
	v_cndmask_b32_e64 v142, v69, v142, s[40:41]                // 0000000063A0: D100008E 00A31D45
	v_cmp_le_u32_e64 s[40:41], v243, v41                       // 0000000063A8: D0CB0028 000253F3
	v_add_u32_e32 v243, 64, v243                               // 0000000063B0: 69E7E6C0
	s_nop 0                                                    // 0000000063B4: BF800000
	v_cndmask_b32_e64 v143, v69, v143, s[40:41]                // 0000000063B8: D100008F 00A31F45

00000000000063c0 <label_1070>:
	s_add_u32 s90, s91, s90                                    // 0000000063C0: 805A5A5B
	v_mov_b32_e32 v62, v128                                    // 0000000063C4: 7E7C0380
	v_max3_f32 v62, v128, v129, v62                            // 0000000063C8: D1D3003E 04FB0380
	v_max3_f32 v62, v130, v131, v62                            // 0000000063D0: D1D3003E 04FB0782
	v_max3_f32 v62, v132, v133, v62                            // 0000000063D8: D1D3003E 04FB0B84
	v_max3_f32 v62, v134, v135, v62                            // 0000000063E0: D1D3003E 04FB0F86
	v_max3_f32 v62, v136, v137, v62                            // 0000000063E8: D1D3003E 04FB1388
	v_max3_f32 v62, v138, v139, v62                            // 0000000063F0: D1D3003E 04FB178A
	v_max3_f32 v62, v140, v141, v62                            // 0000000063F8: D1D3003E 04FB1B8C
	v_max3_f32 v62, v142, v143, v62                            // 000000006400: D1D3003E 04FB1F8E
	ds_write_b32 v11, v62 offset:16896                         // 000000006408: D81A4200 00003E0B
	buffer_load_dwordx4 a[56:59], v32, s[16:19], 0 offen       // 000000006410: E05C1000 80843820
	v_mul_u32_u24_dpp v41, v20, v68 row_newbcast:1 row_mask:0xf bank_mask:0xf// 000000006418: 105288FA FF015114
	v_mul_u32_u24_dpp v42, v20, v68 row_newbcast:5 row_mask:0xf bank_mask:0xf// 000000006420: 105488FA FF015514
	v_mul_u32_u24_dpp v43, v20, v68 row_newbcast:9 row_mask:0xf bank_mask:0xf// 000000006428: 105688FA FF015914
	v_mul_u32_u24_dpp v44, v20, v68 row_newbcast:13 row_mask:0xf bank_mask:0xf// 000000006430: 105888FA FF015D14
	v_add_u32_e32 v37, v41, v7                                 // 000000006438: 684A0F29
	v_add_u32_e32 v38, v42, v7                                 // 00000000643C: 684C0F2A
	v_add_u32_e32 v39, v43, v7                                 // 000000006440: 684E0F2B
	v_add_u32_e32 v40, v44, v7                                 // 000000006444: 68500F2C
	v_mul_f32_e32 v224, v63, v224                              // 000000006448: 0BC1C13F
	v_mul_f32_e32 v225, v63, v225                              // 00000000644C: 0BC3C33F
	v_mul_f32_e32 v226, v63, v226                              // 000000006450: 0BC5C53F
	v_mul_f32_e32 v227, v63, v227                              // 000000006454: 0BC7C73F
	v_mul_f32_e32 v228, v63, v228                              // 000000006458: 0BC9C93F
	v_mul_f32_e32 v229, v63, v229                              // 00000000645C: 0BCBCB3F
	v_mul_f32_e32 v230, v63, v230                              // 000000006460: 0BCDCD3F
	v_mul_f32_e32 v231, v63, v231                              // 000000006464: 0BCFCF3F
	s_waitcnt lgkmcnt(0)                                       // 000000006468: BF8CC07F
	s_barrier                                                  // 00000000646C: BF8A0000
	ds_read_b32 v80, v10 offset:16896                          // 000000006470: D86C4200 5000000A
	ds_read_b32 v81, v10 offset:16960                          // 000000006478: D86C4240 5100000A
	ds_read_b32 v82, v10 offset:17024                          // 000000006480: D86C4280 5200000A
	ds_read_b32 v83, v10 offset:17088                          // 000000006488: D86C42C0 5300000A
	ds_read_b32 v84, v10 offset:17152                          // 000000006490: D86C4300 5400000A
	ds_read_b32 v85, v10 offset:17216                          // 000000006498: D86C4340 5500000A
	ds_read_b32 v86, v10 offset:17280                          // 0000000064A0: D86C4380 5600000A
	ds_read_b32 v87, v10 offset:17344                          // 0000000064A8: D86C43C0 5700000A
	ds_read_b32 v88, v10 offset:17408                          // 0000000064B0: D86C4400 5800000A
	ds_read_b32 v89, v10 offset:17472                          // 0000000064B8: D86C4440 5900000A
	ds_read_b32 v90, v10 offset:17536                          // 0000000064C0: D86C4480 5A00000A
	ds_read_b32 v91, v10 offset:17600                          // 0000000064C8: D86C44C0 5B00000A
	ds_read_b32 v92, v10 offset:17664                          // 0000000064D0: D86C4500 5C00000A
	ds_read_b32 v93, v10 offset:17728                          // 0000000064D8: D86C4540 5D00000A
	ds_read_b32 v94, v10 offset:17792                          // 0000000064E0: D86C4580 5E00000A
	ds_read_b32 v95, v10 offset:17856                          // 0000000064E8: D86C45C0 5F00000A
	buffer_load_dwordx4 a[60:63], v32, s[16:19], 0 offen offset:1024// 0000000064F0: E05C1400 80843C20
	v_mul_f32_e32 v192, v58, v192                              // 0000000064F8: 0B81813A
	v_mul_f32_e32 v193, v58, v193                              // 0000000064FC: 0B83833A
	v_mul_f32_e32 v194, v58, v194                              // 000000006500: 0B85853A
	v_mul_f32_e32 v195, v58, v195                              // 000000006504: 0B87873A
	v_mul_f32_e32 v196, v58, v196                              // 000000006508: 0B89893A
	v_mul_f32_e32 v197, v58, v197                              // 00000000650C: 0B8B8B3A
	v_mul_f32_e32 v198, v58, v198                              // 000000006510: 0B8D8D3A
	v_mul_f32_e32 v199, v58, v199                              // 000000006514: 0B8F8F3A
	s_waitcnt lgkmcnt(0)                                       // 000000006518: BF8CC07F
	v_max3_f32 v62, v80, v81, v62                              // 00000000651C: D1D3003E 04FAA350
	v_max3_f32 v62, v82, v83, v62                              // 000000006524: D1D3003E 04FAA752
	v_max3_f32 v62, v84, v85, v62                              // 00000000652C: D1D3003E 04FAAB54
	v_max3_f32 v62, v86, v87, v62                              // 000000006534: D1D3003E 04FAAF56
	v_max3_f32 v62, v88, v89, v62                              // 00000000653C: D1D3003E 04FAB358
	v_max3_f32 v62, v90, v91, v62                              // 000000006544: D1D3003E 04FAB75A
	v_max3_f32 v62, v92, v93, v62                              // 00000000654C: D1D3003E 04FABB5C
	v_max3_f32 v62, v94, v95, v62                              // 000000006554: D1D3003E 04FABF5E
	buffer_load_dwordx4 a[96:99], v37, s[20:23], 0 offen       // 00000000655C: E05C1000 80856025
	v_mov_b32_e32 v41, 0xff800000                              // 000000006564: 7E5202FF FF800000
	v_cmp_eq_u32_e64 s[40:41], v41, v14                        // 00000000656C: D0CA0028 00021D29
	s_nop 1                                                    // 000000006574: BF800001
	v_max_f32_e32 v18, v62, v14                                // 000000006578: 16241D3E
	v_mul_f32_e32 v67, s64, v18                                // 00000000657C: 0A862440
	v_fma_f32 v128, v128, s64, -v67                            // 000000006580: D1CB0080 850C8180
	v_fma_f32 v129, v129, s64, -v67                            // 000000006588: D1CB0081 850C8181
	v_fma_f32 v130, v130, s64, -v67                            // 000000006590: D1CB0082 850C8182
	v_fma_f32 v131, v131, s64, -v67                            // 000000006598: D1CB0083 850C8183
	v_fma_f32 v132, v132, s64, -v67                            // 0000000065A0: D1CB0084 850C8184
	v_fma_f32 v133, v133, s64, -v67                            // 0000000065A8: D1CB0085 850C8185
	v_fma_f32 v134, v134, s64, -v67                            // 0000000065B0: D1CB0086 850C8186
	v_fma_f32 v135, v135, s64, -v67                            // 0000000065B8: D1CB0087 850C8187
	v_fma_f32 v136, v136, s64, -v67                            // 0000000065C0: D1CB0088 850C8188
	v_fma_f32 v137, v137, s64, -v67                            // 0000000065C8: D1CB0089 850C8189
	v_fma_f32 v138, v138, s64, -v67                            // 0000000065D0: D1CB008A 850C818A
	v_fma_f32 v139, v139, s64, -v67                            // 0000000065D8: D1CB008B 850C818B
	v_fma_f32 v140, v140, s64, -v67                            // 0000000065E0: D1CB008C 850C818C
	v_fma_f32 v141, v141, s64, -v67                            // 0000000065E8: D1CB008D 850C818D
	v_fma_f32 v142, v142, s64, -v67                            // 0000000065F0: D1CB008E 850C818E
	v_fma_f32 v143, v143, s64, -v67                            // 0000000065F8: D1CB008F 850C818F
	buffer_load_dwordx4 a[100:103], v38, s[20:23], 0 offen     // 000000006600: E05C1000 80856426
	v_exp_f32_e32 v128, v128                                   // 000000006608: 7F004180
	v_exp_f32_e32 v129, v129                                   // 00000000660C: 7F024181
	v_exp_f32_e32 v130, v130                                   // 000000006610: 7F044182
	v_exp_f32_e32 v131, v131                                   // 000000006614: 7F064183
	v_exp_f32_e32 v132, v132                                   // 000000006618: 7F084184
	v_exp_f32_e32 v133, v133                                   // 00000000661C: 7F0A4185
	v_exp_f32_e32 v134, v134                                   // 000000006620: 7F0C4186
	v_exp_f32_e32 v135, v135                                   // 000000006624: 7F0E4187
	v_exp_f32_e32 v136, v136                                   // 000000006628: 7F104188
	v_exp_f32_e32 v137, v137                                   // 00000000662C: 7F124189
	v_exp_f32_e32 v138, v138                                   // 000000006630: 7F14418A
	v_exp_f32_e32 v139, v139                                   // 000000006634: 7F16418B
	v_exp_f32_e32 v140, v140                                   // 000000006638: 7F18418C
	v_exp_f32_e32 v141, v141                                   // 00000000663C: 7F1A418D
	v_exp_f32_e32 v142, v142                                   // 000000006640: 7F1C418E
	v_exp_f32_e32 v143, v143                                   // 000000006644: 7F1E418F
	buffer_load_dwordx4 a[104:107], v39, s[20:23], 0 offen     // 000000006648: E05C1000 80856827
	v_mul_f32_dpp v240, v252, v128 quad_perm:[0,0,0,0] row_mask:0xf bank_mask:0xf// 000000006650: 0BE100FA FF0000FC
	v_mul_f32_dpp v241, v252, v129 quad_perm:[1,1,1,1] row_mask:0xf bank_mask:0xf// 000000006658: 0BE302FA FF0055FC
	v_mul_f32_dpp v242, v252, v130 quad_perm:[2,2,2,2] row_mask:0xf bank_mask:0xf// 000000006660: 0BE504FA FF00AAFC
	v_mul_f32_dpp v243, v252, v131 quad_perm:[3,3,3,3] row_mask:0xf bank_mask:0xf// 000000006668: 0BE706FA FF00FFFC
	v_mul_f32_dpp v244, v253, v132 quad_perm:[0,0,0,0] row_mask:0xf bank_mask:0xf// 000000006670: 0BE908FA FF0000FD
	v_mul_f32_dpp v245, v253, v133 quad_perm:[1,1,1,1] row_mask:0xf bank_mask:0xf// 000000006678: 0BEB0AFA FF0055FD
	v_mul_f32_dpp v246, v253, v134 quad_perm:[2,2,2,2] row_mask:0xf bank_mask:0xf// 000000006680: 0BED0CFA FF00AAFD
	v_mul_f32_dpp v247, v253, v135 quad_perm:[3,3,3,3] row_mask:0xf bank_mask:0xf// 000000006688: 0BEF0EFA FF00FFFD
	v_mul_f32_dpp v248, v254, v136 quad_perm:[0,0,0,0] row_mask:0xf bank_mask:0xf// 000000006690: 0BF110FA FF0000FE
	v_mul_f32_dpp v249, v254, v137 quad_perm:[1,1,1,1] row_mask:0xf bank_mask:0xf// 000000006698: 0BF312FA FF0055FE
	v_mul_f32_dpp v250, v254, v138 quad_perm:[2,2,2,2] row_mask:0xf bank_mask:0xf// 0000000066A0: 0BF514FA FF00AAFE
	v_mul_f32_dpp v251, v254, v139 quad_perm:[3,3,3,3] row_mask:0xf bank_mask:0xf// 0000000066A8: 0BF716FA FF00FFFE
	v_mul_f32_dpp v252, v255, v140 quad_perm:[0,0,0,0] row_mask:0xf bank_mask:0xf// 0000000066B0: 0BF918FA FF0000FF
	v_mul_f32_dpp v253, v255, v141 quad_perm:[1,1,1,1] row_mask:0xf bank_mask:0xf// 0000000066B8: 0BFB1AFA FF0055FF
	v_mul_f32_dpp v254, v255, v142 quad_perm:[2,2,2,2] row_mask:0xf bank_mask:0xf// 0000000066C0: 0BFD1CFA FF00AAFF
	v_mul_f32_dpp v255, v255, v143 quad_perm:[3,3,3,3] row_mask:0xf bank_mask:0xf// 0000000066C8: 0BFF1EFA FF00FFFF
	v_mov_b32_e32 v62, 0x358637bd                              // 0000000066D0: 7E7C02FF 358637BD
	v_max3_f32 v62, |v240|, |v241|, v62                        // 0000000066D8: D1D3033E 04FBE3F0
	v_max3_f32 v62, |v242|, |v243|, v62                        // 0000000066E0: D1D3033E 04FBE7F2
	v_max3_f32 v62, |v244|, |v245|, v62                        // 0000000066E8: D1D3033E 04FBEBF4
	v_max3_f32 v62, |v246|, |v247|, v62                        // 0000000066F0: D1D3033E 04FBEFF6
	v_max3_f32 v62, |v248|, |v249|, v62                        // 0000000066F8: D1D3033E 04FBF3F8
	v_max3_f32 v62, |v250|, |v251|, v62                        // 000000006700: D1D3033E 04FBF7FA
	v_max3_f32 v62, |v252|, |v253|, v62                        // 000000006708: D1D3033E 04FBFBFC
	v_max3_f32 v62, |v254|, |v255|, v62                        // 000000006710: D1D3033E 04FBFFFE
	buffer_load_dwordx4 a[108:111], v40, s[20:23], 0 offen     // 000000006718: E05C1000 80856C28
	ds_write_b32 v11, v62 offset:20992                         // 000000006720: D81A5200 00003E0B
	v_sub_f32_e32 v63, v14, v18                                // 000000006728: 047E250E
	v_cndmask_b32_e64 v63, v63, 0, s[40:41]                    // 00000000672C: D100003F 00A1013F
	v_mov_b32_e32 v14, v18                                     // 000000006734: 7E1C0312
	v_mul_f32_e32 v63, s64, v63                                // 000000006738: 0A7E7E40
	v_exp_f32_e32 v63, v63                                     // 00000000673C: 7E7E413F
	s_waitcnt lgkmcnt(0)                                       // 000000006740: BF8CC07F
	s_barrier                                                  // 000000006744: BF8A0000
	ds_read_b32 v80, v10 offset:20992                          // 000000006748: D86C5200 5000000A
	ds_read_b32 v81, v10 offset:21056                          // 000000006750: D86C5240 5100000A
	ds_read_b32 v82, v10 offset:21120                          // 000000006758: D86C5280 5200000A
	ds_read_b32 v83, v10 offset:21184                          // 000000006760: D86C52C0 5300000A
	ds_read_b32 v84, v10 offset:21248                          // 000000006768: D86C5300 5400000A
	ds_read_b32 v85, v10 offset:21312                          // 000000006770: D86C5340 5500000A
	ds_read_b32 v86, v10 offset:21376                          // 000000006778: D86C5380 5600000A
	ds_read_b32 v87, v10 offset:21440                          // 000000006780: D86C53C0 5700000A
	ds_read_b32 v88, v10 offset:21504                          // 000000006788: D86C5400 5800000A
	ds_read_b32 v89, v10 offset:21568                          // 000000006790: D86C5440 5900000A
	ds_read_b32 v90, v10 offset:21632                          // 000000006798: D86C5480 5A00000A
	ds_read_b32 v91, v10 offset:21696                          // 0000000067A0: D86C54C0 5B00000A
	ds_read_b32 v92, v10 offset:21760                          // 0000000067A8: D86C5500 5C00000A
	ds_read_b32 v93, v10 offset:21824                          // 0000000067B0: D86C5540 5D00000A
	ds_read_b32 v94, v10 offset:21888                          // 0000000067B8: D86C5580 5E00000A
	ds_read_b32 v95, v10 offset:21952                          // 0000000067C0: D86C55C0 5F00000A
	v_mul_f32_e32 v47, v63, v47                                // 0000000067C8: 0A5E5F3F
	v_mov_b32_e32 v18, v128                                    // 0000000067CC: 7E240380
	v_add_f32_e32 v18, v129, v18                               // 0000000067D0: 02242581
	v_add_f32_e32 v18, v130, v18                               // 0000000067D4: 02242582
	v_add_f32_e32 v18, v131, v18                               // 0000000067D8: 02242583
	v_add_f32_e32 v18, v132, v18                               // 0000000067DC: 02242584
	v_add_f32_e32 v18, v133, v18                               // 0000000067E0: 02242585
	v_add_f32_e32 v18, v134, v18                               // 0000000067E4: 02242586
	v_add_f32_e32 v18, v135, v18                               // 0000000067E8: 02242587
	v_add_f32_e32 v18, v136, v18                               // 0000000067EC: 02242588
	v_add_f32_e32 v18, v137, v18                               // 0000000067F0: 02242589
	v_add_f32_e32 v18, v138, v18                               // 0000000067F4: 0224258A
	v_add_f32_e32 v18, v139, v18                               // 0000000067F8: 0224258B
	v_add_f32_e32 v18, v140, v18                               // 0000000067FC: 0224258C
	v_add_f32_e32 v18, v141, v18                               // 000000006800: 0224258D
	v_add_f32_e32 v18, v142, v18                               // 000000006804: 0224258E
	v_add_f32_e32 v18, v143, v18                               // 000000006808: 0224258F
	v_add_f32_e32 v47, v18, v47                                // 00000000680C: 025E5F12
	s_waitcnt lgkmcnt(0)                                       // 000000006810: BF8CC07F
	v_max3_f32 v62, |v80|, |v81|, v62                          // 000000006814: D1D3033E 04FAA350
	v_max3_f32 v62, |v82|, |v83|, v62                          // 00000000681C: D1D3033E 04FAA752
	v_max3_f32 v62, |v84|, |v85|, v62                          // 000000006824: D1D3033E 04FAAB54
	v_max3_f32 v62, |v86|, |v87|, v62                          // 00000000682C: D1D3033E 04FAAF56
	v_max3_f32 v62, |v88|, |v89|, v62                          // 000000006834: D1D3033E 04FAB358
	v_max3_f32 v62, |v90|, |v91|, v62                          // 00000000683C: D1D3033E 04FAB75A
	v_max3_f32 v62, |v92|, |v93|, v62                          // 000000006844: D1D3033E 04FABB5C
	v_max3_f32 v62, |v94|, |v95|, v62                          // 00000000684C: D1D3033E 04FABF5E
	s_nop 2                                                    // 000000006854: BF800002
	v_rcp_f32_e32 v62, v62                                     // 000000006858: 7E7C453E
	s_nop 1                                                    // 00000000685C: BF800001
	v_mul_f32_e32 v62, 0x43e00000, v62                         // 000000006860: 0A7C7CFF 43E00000
	v_mul_f32_e32 v128, v62, v240                              // 000000006868: 0B01E13E
	v_mul_f32_e32 v129, v62, v241                              // 00000000686C: 0B03E33E
	v_mul_f32_e32 v130, v62, v242                              // 000000006870: 0B05E53E
	v_mul_f32_e32 v131, v62, v243                              // 000000006874: 0B07E73E
	v_mul_f32_e32 v132, v62, v244                              // 000000006878: 0B09E93E
	v_mul_f32_e32 v133, v62, v245                              // 00000000687C: 0B0BEB3E
	v_mul_f32_e32 v134, v62, v246                              // 000000006880: 0B0DED3E
	v_mul_f32_e32 v135, v62, v247                              // 000000006884: 0B0FEF3E
	v_mul_f32_e32 v136, v62, v248                              // 000000006888: 0B11F13E
	v_mul_f32_e32 v137, v62, v249                              // 00000000688C: 0B13F33E
	v_mul_f32_e32 v138, v62, v250                              // 000000006890: 0B15F53E
	v_mul_f32_e32 v139, v62, v251                              // 000000006894: 0B17F73E
	v_mul_f32_e32 v140, v62, v252                              // 000000006898: 0B19F93E
	v_mul_f32_e32 v141, v62, v253                              // 00000000689C: 0B1BFB3E
	v_mul_f32_e32 v142, v62, v254                              // 0000000068A0: 0B1DFD3E
	v_mul_f32_e32 v143, v62, v255                              // 0000000068A4: 0B1FFF3E
	v_cvt_pk_fp8_f32 v128, v128, v129                          // 0000000068A8: D2A20080 00030380
	v_cvt_pk_fp8_f32 v128, v130, v131 op_sel:[0,0,1]           // 0000000068B0: D2A24080 00030782
	v_cvt_pk_fp8_f32 v129, v132, v133                          // 0000000068B8: D2A20081 00030B84
	v_cvt_pk_fp8_f32 v129, v134, v135 op_sel:[0,0,1]           // 0000000068C0: D2A24081 00030F86
	v_cvt_pk_fp8_f32 v130, v136, v137                          // 0000000068C8: D2A20082 00031388
	v_cvt_pk_fp8_f32 v130, v138, v139 op_sel:[0,0,1]           // 0000000068D0: D2A24082 0003178A
	v_cvt_pk_fp8_f32 v131, v140, v141                          // 0000000068D8: D2A20083 00031B8C
	v_cvt_pk_fp8_f32 v131, v142, v143 op_sel:[0,0,1]           // 0000000068E0: D2A24083 00031F8E
	ds_write_b32 v13, v128 offset:25088                        // 0000000068E8: D81A6200 0000800D
	ds_write_b32 v13, v129 offset:26112                        // 0000000068F0: D81A6600 0000810D
	ds_write_b32 v13, v130 offset:27136                        // 0000000068F8: D81A6A00 0000820D
	ds_write_b32 v13, v131 offset:28160                        // 000000006900: D81A6E00 0000830D
	v_add_f32_e32 v224, v224, v192                             // 000000006908: 03C181E0
	v_add_f32_e32 v225, v225, v193                             // 00000000690C: 03C383E1
	v_add_f32_e32 v226, v226, v194                             // 000000006910: 03C585E2
	v_add_f32_e32 v227, v227, v195                             // 000000006914: 03C787E3
	v_add_f32_e32 v228, v228, v196                             // 000000006918: 03C989E4
	v_add_f32_e32 v229, v229, v197                             // 00000000691C: 03CB8BE5
	v_add_f32_e32 v230, v230, v198                             // 000000006920: 03CD8DE6
	v_add_f32_e32 v231, v231, v199                             // 000000006924: 03CF8FE7
	v_rcp_f32_e32 v58, v62                                     // 000000006928: 7E74453E
	s_waitcnt lgkmcnt(0)                                       // 00000000692C: BF8CC07F
	s_barrier                                                  // 000000006930: BF8A0000
	ds_read_b64 v[128:129], v12 offset:25088                   // 000000006934: D8EC6200 8000000C
	ds_read_b64 v[130:131], v12 offset:25216                   // 00000000693C: D8EC6280 8200000C
	ds_read_b64 v[132:133], v12 offset:26112                   // 000000006944: D8EC6600 8400000C
	ds_read_b64 v[134:135], v12 offset:26240                   // 00000000694C: D8EC6680 8600000C
	ds_read_b64 v[136:137], v12 offset:27136                   // 000000006954: D8EC6A00 8800000C
	ds_read_b64 v[138:139], v12 offset:27264                   // 00000000695C: D8EC6A80 8A00000C
	ds_read_b64 v[140:141], v12 offset:28160                   // 000000006964: D8EC6E00 8C00000C
	ds_read_b64 v[142:143], v12 offset:28288                   // 00000000696C: D8EC6E80 8E00000C
	s_waitcnt vmcnt(15)                                        // 000000006974: BF8C0F7F
	s_waitcnt lgkmcnt(7)                                       // 000000006978: BF8CC77F
	v_mfma_f32_16x16x32_fp8_fp8 v[192:195], a[64:65], v[128:129], 0// 00000000697C: D3F300C0 0A030140
	s_waitcnt lgkmcnt(6)                                       // 000000006984: BF8CC67F
	v_mfma_f32_16x16x32_fp8_fp8 v[192:195], a[66:67], v[130:131], v[192:195]// 000000006988: D3F300C0 0F030542
	buffer_load_dwordx4 a[112:115], v37, s[20:23], 0 offen offset:1024// 000000006990: E05C1400 80857025
	s_waitcnt lgkmcnt(5)                                       // 000000006998: BF8CC57F
	v_mfma_f32_16x16x32_fp8_fp8 v[192:195], a[68:69], v[132:133], v[192:195]// 00000000699C: D3F300C0 0F030944
	s_waitcnt lgkmcnt(4)                                       // 0000000069A4: BF8CC47F
	v_mfma_f32_16x16x32_fp8_fp8 v[192:195], a[70:71], v[134:135], v[192:195]// 0000000069A8: D3F300C0 0F030D46
	s_waitcnt lgkmcnt(3)                                       // 0000000069B0: BF8CC37F
	v_mfma_f32_16x16x32_fp8_fp8 v[192:195], a[72:73], v[136:137], v[192:195]// 0000000069B4: D3F300C0 0F031148
	s_waitcnt lgkmcnt(2)                                       // 0000000069BC: BF8CC27F
	v_mfma_f32_16x16x32_fp8_fp8 v[192:195], a[74:75], v[138:139], v[192:195]// 0000000069C0: D3F300C0 0F03154A
	buffer_load_dwordx4 a[116:119], v38, s[20:23], 0 offen offset:1024// 0000000069C8: E05C1400 80857426
	s_waitcnt lgkmcnt(1)                                       // 0000000069D0: BF8CC17F
	v_mfma_f32_16x16x32_fp8_fp8 v[192:195], a[76:77], v[140:141], v[192:195]// 0000000069D4: D3F300C0 0F03194C
	s_waitcnt lgkmcnt(0)                                       // 0000000069DC: BF8CC07F
	v_mfma_f32_16x16x32_fp8_fp8 v[192:195], a[78:79], v[142:143], v[192:195]// 0000000069E0: D3F300C0 0F031D4E
	v_mfma_f32_16x16x32_fp8_fp8 v[196:199], a[80:81], v[128:129], 0// 0000000069E8: D3F300C4 0A030150
	v_mfma_f32_16x16x32_fp8_fp8 v[196:199], a[82:83], v[130:131], v[196:199]// 0000000069F0: D3F300C4 0F130552
	buffer_load_dwordx4 a[120:123], v39, s[20:23], 0 offen offset:1024// 0000000069F8: E05C1400 80857827
	v_mfma_f32_16x16x32_fp8_fp8 v[196:199], a[84:85], v[132:133], v[196:199]// 000000006A00: D3F300C4 0F130954
	v_mfma_f32_16x16x32_fp8_fp8 v[196:199], a[86:87], v[134:135], v[196:199]// 000000006A08: D3F300C4 0F130D56
	v_mfma_f32_16x16x32_fp8_fp8 v[196:199], a[88:89], v[136:137], v[196:199]// 000000006A10: D3F300C4 0F131158
	v_mfma_f32_16x16x32_fp8_fp8 v[196:199], a[90:91], v[138:139], v[196:199]// 000000006A18: D3F300C4 0F13155A
	buffer_load_dwordx4 a[124:127], v40, s[20:23], 0 offen offset:1024// 000000006A20: E05C1400 80857C28
	v_mfma_f32_16x16x32_fp8_fp8 v[196:199], a[92:93], v[140:141], v[196:199]// 000000006A28: D3F300C4 0F13195C
	s_lshr_b32 s57, s70, 4                                     // 000000006A30: 8F398446
	s_add_u32 s57, 48, s57                                     // 000000006A34: 803939B0
	v_mfma_f32_16x16x32_fp8_fp8 v[196:199], a[94:95], v[142:143], v[196:199]// 000000006A38: D3F300C4 0F131D5E
	s_cmp_ge_u32 s57, s73                                      // 000000006A40: BF094939
	s_cselect_b32 s56, 0, s56                                  // 000000006A44: 85383880
	v_add_u32_e32 v1, s56, v1                                  // 000000006A48: 68020238
	s_addk_i32 s70, 0x100                                      // 000000006A4C: B7460100
	s_cmp_lt_i32 s70, s71                                      // 000000006A50: BF044746
	s_cbranch_scc0 label_14DB                                  // 000000006A54: BF8402C5
	s_waitcnt vmcnt(8) lgkmcnt(0)                              // 000000006A58: BF8C0078
	v_mul_u32_u24_dpp v41, v19, v68 row_newbcast:0 row_mask:0xf bank_mask:0xf// 000000006A5C: 105288FA FF015013
	v_mul_u32_u24_dpp v42, v19, v68 row_newbcast:4 row_mask:0xf bank_mask:0xf// 000000006A64: 105488FA FF015413
	v_mul_u32_u24_dpp v43, v19, v68 row_newbcast:8 row_mask:0xf bank_mask:0xf// 000000006A6C: 105688FA FF015813
	v_mul_u32_u24_dpp v44, v19, v68 row_newbcast:12 row_mask:0xf bank_mask:0xf// 000000006A74: 105888FA FF015C13
	v_add_u32_e32 v25, v41, v6                                 // 000000006A7C: 68320D29
	v_add_u32_e32 v26, v42, v6                                 // 000000006A80: 68340D2A
	v_add_u32_e32 v27, v43, v6                                 // 000000006A84: 68360D2B
	v_add_u32_e32 v28, v44, v6                                 // 000000006A88: 68380D2C
	v_mul_u32_u24_dpp v41, v19, v78 quad_perm:[0,0,0,0] row_mask:0xf bank_mask:0xf// 000000006A8C: 10529CFA FF000013
	v_add_u32_e32 v2, v41, v74                                 // 000000006A94: 68049529
	v_mul_u32_u24_dpp v41, v19, v78 quad_perm:[0,0,0,0] row_mask:0xf bank_mask:0xf// 000000006A98: 10529CFA FF000013
	v_add_u32_e32 v70, v41, v75                                // 000000006AA0: 688C9729
	v_mfma_f32_16x16x32_fp8_fp8 v[128:131], a[32:33], v[96:97], 0// 000000006AA4: D3F30080 0A02C120
	v_mfma_f32_16x16x32_fp8_fp8 v[128:131], a[34:35], v[98:99], v[128:131]// 000000006AAC: D3F30080 0E02C522
	buffer_load_dwordx4 a[0:3], v25, s[16:19], 0 offen         // 000000006AB4: E05C1000 80840019
	v_mfma_f32_16x16x32_fp8_fp8 v[128:131], a[36:37], v[100:101], v[128:131]// 000000006ABC: D3F30080 0E02C924
	v_mfma_f32_16x16x32_fp8_fp8 v[128:131], a[38:39], v[102:103], v[128:131]// 000000006AC4: D3F30080 0E02CD26
	buffer_load_dword v20, v1, s[24:27], 0 offen               // 000000006ACC: E0501000 80061401
	v_mfma_f32_16x16x32_fp8_fp8 v[132:135], a[40:41], v[96:97], 0// 000000006AD4: D3F30084 0A02C128
	v_mfma_f32_16x16x32_fp8_fp8 v[132:135], a[42:43], v[98:99], v[132:135]// 000000006ADC: D3F30084 0E12C52A
	buffer_load_dwordx4 a[4:7], v25, s[16:19], 0 offen offset:1024// 000000006AE4: E05C1400 80840419
	v_mfma_f32_16x16x32_fp8_fp8 v[132:135], a[44:45], v[100:101], v[132:135]// 000000006AEC: D3F30084 0E12C92C
	v_mfma_f32_16x16x32_fp8_fp8 v[132:135], a[46:47], v[102:103], v[132:135]// 000000006AF4: D3F30084 0E12CD2E
	v_mfma_f32_16x16x32_fp8_fp8 v[136:139], a[48:49], v[96:97], 0// 000000006AFC: D3F30088 0A02C130
	v_mfma_f32_16x16x32_fp8_fp8 v[136:139], a[50:51], v[98:99], v[136:139]// 000000006B04: D3F30088 0E22C532
	buffer_load_dwordx4 a[8:11], v26, s[16:19], 0 offen        // 000000006B0C: E05C1000 8084081A
	v_mfma_f32_16x16x32_fp8_fp8 v[136:139], a[52:53], v[100:101], v[136:139]// 000000006B14: D3F30088 0E22C934
	v_mfma_f32_16x16x32_fp8_fp8 v[136:139], a[54:55], v[102:103], v[136:139]// 000000006B1C: D3F30088 0E22CD36
	v_mfma_f32_16x16x32_fp8_fp8 v[140:143], a[56:57], v[96:97], 0// 000000006B24: D3F3008C 0A02C138
	v_mfma_f32_16x16x32_fp8_fp8 v[140:143], a[58:59], v[98:99], v[140:143]// 000000006B2C: D3F3008C 0E32C53A
	buffer_load_dwordx4 a[12:15], v26, s[16:19], 0 offen offset:1024// 000000006B34: E05C1400 80840C1A
	v_mfma_f32_16x16x32_fp8_fp8 v[140:143], a[60:61], v[100:101], v[140:143]// 000000006B3C: D3F3008C 0E32C93C
	v_mfma_f32_16x16x32_fp8_fp8 v[140:143], a[62:63], v[102:103], v[140:143]// 000000006B44: D3F3008C 0E32CD3E
	buffer_load_dword v52, v2, s[32:35], 0 offen               // 000000006B4C: E0501000 80083402
	v_mov_b32_dpp v41, v53 row_shr:4 row_mask:0xf bank_mask:0xf// 000000006B54: 7E5202FA FF011435
	v_mov_b32_dpp v42, v53 row_shl:4 row_mask:0xf bank_mask:0xf// 000000006B5C: 7E5402FA FF010435
	v_cndmask_b32_e64 v248, v53, v41, s[44:45]                 // 000000006B64: D10000F8 00B25335
	v_cndmask_b32_e64 v249, v42, v53, s[44:45]                 // 000000006B6C: D10000F9 00B26B2A
	v_mov_b32_dpp v41, v248 row_shr:8 row_mask:0xf bank_mask:0xf// 000000006B74: 7E5202FA FF0118F8
	v_mov_b32_dpp v42, v248 row_shl:8 row_mask:0xf bank_mask:0xf// 000000006B7C: 7E5402FA FF0108F8
	v_mov_b32_dpp v43, v249 row_shr:8 row_mask:0xf bank_mask:0xf// 000000006B84: 7E5602FA FF0118F9
	v_mov_b32_dpp v44, v249 row_shl:8 row_mask:0xf bank_mask:0xf// 000000006B8C: 7E5802FA FF0108F9
	v_mov_b32_e32 v45, v248                                    // 000000006B94: 7E5A03F8
	v_mov_b32_e32 v46, v249                                    // 000000006B98: 7E5C03F9
	v_cndmask_b32_e64 v248, v45, v41, s[42:43]                 // 000000006B9C: D10000F8 00AA532D
	v_cndmask_b32_e64 v250, v45, v42, s[78:79]                 // 000000006BA4: D10000FA 013A552D
	v_cndmask_b32_e64 v249, v46, v43, s[42:43]                 // 000000006BAC: D10000F9 00AA572E
	v_cndmask_b32_e64 v251, v46, v44, s[78:79]                 // 000000006BB4: D10000FB 013A592E
	v_mov_b32_dpp v41, v73 row_shr:4 row_mask:0xf bank_mask:0xf// 000000006BBC: 7E5202FA FF011449
	v_mov_b32_dpp v42, v73 row_shl:4 row_mask:0xf bank_mask:0xf// 000000006BC4: 7E5402FA FF010449
	v_cndmask_b32_e64 v252, v73, v41, s[44:45]                 // 000000006BCC: D10000FC 00B25349
	v_cndmask_b32_e64 v253, v42, v73, s[44:45]                 // 000000006BD4: D10000FD 00B2932A
	v_mov_b32_dpp v41, v252 row_shr:8 row_mask:0xf bank_mask:0xf// 000000006BDC: 7E5202FA FF0118FC
	v_mov_b32_dpp v42, v252 row_shl:8 row_mask:0xf bank_mask:0xf// 000000006BE4: 7E5402FA FF0108FC
	v_mov_b32_dpp v43, v253 row_shr:8 row_mask:0xf bank_mask:0xf// 000000006BEC: 7E5602FA FF0118FD
	v_mov_b32_dpp v44, v253 row_shl:8 row_mask:0xf bank_mask:0xf// 000000006BF4: 7E5802FA FF0108FD
	v_mov_b32_e32 v45, v252                                    // 000000006BFC: 7E5A03FC
	v_mov_b32_e32 v46, v253                                    // 000000006C00: 7E5C03FD
	v_cndmask_b32_e64 v252, v45, v41, s[42:43]                 // 000000006C04: D10000FC 00AA532D
	v_cndmask_b32_e64 v254, v45, v42, s[78:79]                 // 000000006C0C: D10000FE 013A552D
	v_cndmask_b32_e64 v253, v46, v43, s[42:43]                 // 000000006C14: D10000FD 00AA572E
	v_cndmask_b32_e64 v255, v46, v44, s[78:79]                 // 000000006C1C: D10000FF 013A592E
	buffer_load_dword v72, v70, s[36:39], 0 offen              // 000000006C24: E0501000 80094846
	v_mul_f32_e32 v128, v54, v128                              // 000000006C2C: 0B010136
	v_mul_f32_e32 v129, v54, v129                              // 000000006C30: 0B030336
	v_mul_f32_e32 v130, v54, v130                              // 000000006C34: 0B050536
	v_mul_f32_e32 v131, v54, v131                              // 000000006C38: 0B070736
	v_mul_f32_e32 v132, v54, v132                              // 000000006C3C: 0B090936
	v_mul_f32_e32 v133, v54, v133                              // 000000006C40: 0B0B0B36
	v_mul_f32_e32 v134, v54, v134                              // 000000006C44: 0B0D0D36
	v_mul_f32_e32 v135, v54, v135                              // 000000006C48: 0B0F0F36
	v_mul_f32_e32 v136, v54, v136                              // 000000006C4C: 0B111136
	v_mul_f32_e32 v137, v54, v137                              // 000000006C50: 0B131336
	v_mul_f32_e32 v138, v54, v138                              // 000000006C54: 0B151536
	v_mul_f32_e32 v139, v54, v139                              // 000000006C58: 0B171736
	v_mul_f32_e32 v140, v54, v140                              // 000000006C5C: 0B191936
	v_mul_f32_e32 v141, v54, v141                              // 000000006C60: 0B1B1B36
	v_mul_f32_e32 v142, v54, v142                              // 000000006C64: 0B1D1D36
	v_mul_f32_e32 v143, v54, v143                              // 000000006C68: 0B1F1F36
	buffer_load_dwordx4 a[16:19], v27, s[16:19], 0 offen       // 000000006C6C: E05C1000 8084101B
	v_mul_f32_dpp v128, v248, v128 quad_perm:[0,0,0,0] row_mask:0xf bank_mask:0xf// 000000006C74: 0B0100FA FF0000F8
	v_mul_f32_dpp v129, v248, v129 quad_perm:[1,1,1,1] row_mask:0xf bank_mask:0xf// 000000006C7C: 0B0302FA FF0055F8
	v_mul_f32_dpp v130, v248, v130 quad_perm:[2,2,2,2] row_mask:0xf bank_mask:0xf// 000000006C84: 0B0504FA FF00AAF8
	v_mul_f32_dpp v131, v248, v131 quad_perm:[3,3,3,3] row_mask:0xf bank_mask:0xf// 000000006C8C: 0B0706FA FF00FFF8
	v_mul_f32_dpp v132, v249, v132 quad_perm:[0,0,0,0] row_mask:0xf bank_mask:0xf// 000000006C94: 0B0908FA FF0000F9
	v_mul_f32_dpp v133, v249, v133 quad_perm:[1,1,1,1] row_mask:0xf bank_mask:0xf// 000000006C9C: 0B0B0AFA FF0055F9
	v_mul_f32_dpp v134, v249, v134 quad_perm:[2,2,2,2] row_mask:0xf bank_mask:0xf// 000000006CA4: 0B0D0CFA FF00AAF9
	v_mul_f32_dpp v135, v249, v135 quad_perm:[3,3,3,3] row_mask:0xf bank_mask:0xf// 000000006CAC: 0B0F0EFA FF00FFF9
	v_mul_f32_dpp v136, v250, v136 quad_perm:[0,0,0,0] row_mask:0xf bank_mask:0xf// 000000006CB4: 0B1110FA FF0000FA
	v_mul_f32_dpp v137, v250, v137 quad_perm:[1,1,1,1] row_mask:0xf bank_mask:0xf// 000000006CBC: 0B1312FA FF0055FA
	v_mul_f32_dpp v138, v250, v138 quad_perm:[2,2,2,2] row_mask:0xf bank_mask:0xf// 000000006CC4: 0B1514FA FF00AAFA
	v_mul_f32_dpp v139, v250, v139 quad_perm:[3,3,3,3] row_mask:0xf bank_mask:0xf// 000000006CCC: 0B1716FA FF00FFFA
	v_mul_f32_dpp v140, v251, v140 quad_perm:[0,0,0,0] row_mask:0xf bank_mask:0xf// 000000006CD4: 0B1918FA FF0000FB
	v_mul_f32_dpp v141, v251, v141 quad_perm:[1,1,1,1] row_mask:0xf bank_mask:0xf// 000000006CDC: 0B1B1AFA FF0055FB
	v_mul_f32_dpp v142, v251, v142 quad_perm:[2,2,2,2] row_mask:0xf bank_mask:0xf// 000000006CE4: 0B1D1CFA FF00AAFB
	v_mul_f32_dpp v143, v251, v143 quad_perm:[3,3,3,3] row_mask:0xf bank_mask:0xf// 000000006CEC: 0B1F1EFA FF00FFFB
	buffer_load_dwordx4 a[20:23], v27, s[16:19], 0 offen offset:1024// 000000006CF4: E05C1400 8084141B
	s_cmp_le_i32 s90, s89                                      // 000000006CFC: BF05595A
	s_cbranch_scc1 label_1334                                  // 000000006D00: BF850073
	v_mov_b32_e32 v69, 0xff800000                              // 000000006D04: 7E8A02FF FF800000
	s_mov_b32 s60, s90                                         // 000000006D0C: BEBC005A
	s_add_u32 s61, s89, 0xff                                   // 000000006D10: 803DFF59 000000FF
	v_mov_b32_e32 v41, s61                                     // 000000006D18: 7E52023D
	v_lshrrev_b32_e32 v240, 4, v0                              // 000000006D1C: 21E00084
	v_mul_i32_i24_e32 v240, 4, v240                            // 000000006D20: 0DE1E084
	v_add_u32_e32 v240, s60, v240                              // 000000006D24: 69E1E03C
	v_and_b32_e32 v42, 15, v0                                  // 000000006D28: 2654008F
	v_lshrrev_b32_e32 v42, 3, v42                              // 000000006D2C: 20545483
	s_mov_b32 s61, 0                                           // 000000006D30: BEBD0080
	s_mul_i32 s60, 16, s7                                      // 000000006D34: 923C0790
	v_add_u32_e32 v42, s61, v42                                // 000000006D38: 6854543D
	v_sub_u32_e32 v240, v240, v42                              // 000000006D3C: 6BE055F0
	v_add_u32_e32 v240, s60, v240                              // 000000006D40: 69E1E03C
	v_add_u32_e32 v241, 1, v240                                // 000000006D44: 69E3E081
	v_add_u32_e32 v242, 2, v240                                // 000000006D48: 69E5E082
	v_add_u32_e32 v243, 3, v240                                // 000000006D4C: 69E7E083
	v_cmp_le_u32_e64 s[40:41], v240, v41                       // 000000006D50: D0CB0028 000253F0
	v_add_u32_e32 v240, 64, v240                               // 000000006D58: 69E1E0C0
	s_nop 0                                                    // 000000006D5C: BF800000
	v_cndmask_b32_e64 v128, v69, v128, s[40:41]                // 000000006D60: D1000080 00A30145
	v_cmp_le_u32_e64 s[40:41], v241, v41                       // 000000006D68: D0CB0028 000253F1
	v_add_u32_e32 v241, 64, v241                               // 000000006D70: 69E3E2C0
	s_nop 0                                                    // 000000006D74: BF800000
	v_cndmask_b32_e64 v129, v69, v129, s[40:41]                // 000000006D78: D1000081 00A30345
	v_cmp_le_u32_e64 s[40:41], v242, v41                       // 000000006D80: D0CB0028 000253F2
	v_add_u32_e32 v242, 64, v242                               // 000000006D88: 69E5E4C0
	s_nop 0                                                    // 000000006D8C: BF800000
	v_cndmask_b32_e64 v130, v69, v130, s[40:41]                // 000000006D90: D1000082 00A30545
	v_cmp_le_u32_e64 s[40:41], v243, v41                       // 000000006D98: D0CB0028 000253F3
	v_add_u32_e32 v243, 64, v243                               // 000000006DA0: 69E7E6C0
	s_nop 0                                                    // 000000006DA4: BF800000
	v_cndmask_b32_e64 v131, v69, v131, s[40:41]                // 000000006DA8: D1000083 00A30745
	v_cmp_le_u32_e64 s[40:41], v240, v41                       // 000000006DB0: D0CB0028 000253F0
	v_add_u32_e32 v240, 64, v240                               // 000000006DB8: 69E1E0C0
	s_nop 0                                                    // 000000006DBC: BF800000
	v_cndmask_b32_e64 v132, v69, v132, s[40:41]                // 000000006DC0: D1000084 00A30945
	v_cmp_le_u32_e64 s[40:41], v241, v41                       // 000000006DC8: D0CB0028 000253F1
	v_add_u32_e32 v241, 64, v241                               // 000000006DD0: 69E3E2C0
	s_nop 0                                                    // 000000006DD4: BF800000
	v_cndmask_b32_e64 v133, v69, v133, s[40:41]                // 000000006DD8: D1000085 00A30B45
	v_cmp_le_u32_e64 s[40:41], v242, v41                       // 000000006DE0: D0CB0028 000253F2
	v_add_u32_e32 v242, 64, v242                               // 000000006DE8: 69E5E4C0
	s_nop 0                                                    // 000000006DEC: BF800000
	v_cndmask_b32_e64 v134, v69, v134, s[40:41]                // 000000006DF0: D1000086 00A30D45
	v_cmp_le_u32_e64 s[40:41], v243, v41                       // 000000006DF8: D0CB0028 000253F3
	v_add_u32_e32 v243, 64, v243                               // 000000006E00: 69E7E6C0
	s_nop 0                                                    // 000000006E04: BF800000
	v_cndmask_b32_e64 v135, v69, v135, s[40:41]                // 000000006E08: D1000087 00A30F45
	v_cmp_le_u32_e64 s[40:41], v240, v41                       // 000000006E10: D0CB0028 000253F0
	v_add_u32_e32 v240, 64, v240                               // 000000006E18: 69E1E0C0
	s_nop 0                                                    // 000000006E1C: BF800000
	v_cndmask_b32_e64 v136, v69, v136, s[40:41]                // 000000006E20: D1000088 00A31145
	v_cmp_le_u32_e64 s[40:41], v241, v41                       // 000000006E28: D0CB0028 000253F1
	v_add_u32_e32 v241, 64, v241                               // 000000006E30: 69E3E2C0
	s_nop 0                                                    // 000000006E34: BF800000
	v_cndmask_b32_e64 v137, v69, v137, s[40:41]                // 000000006E38: D1000089 00A31345
	v_cmp_le_u32_e64 s[40:41], v242, v41                       // 000000006E40: D0CB0028 000253F2
	v_add_u32_e32 v242, 64, v242                               // 000000006E48: 69E5E4C0
	s_nop 0                                                    // 000000006E4C: BF800000
	v_cndmask_b32_e64 v138, v69, v138, s[40:41]                // 000000006E50: D100008A 00A31545
	v_cmp_le_u32_e64 s[40:41], v243, v41                       // 000000006E58: D0CB0028 000253F3
	v_add_u32_e32 v243, 64, v243                               // 000000006E60: 69E7E6C0
	s_nop 0                                                    // 000000006E64: BF800000
	v_cndmask_b32_e64 v139, v69, v139, s[40:41]                // 000000006E68: D100008B 00A31745
	v_cmp_le_u32_e64 s[40:41], v240, v41                       // 000000006E70: D0CB0028 000253F0
	v_add_u32_e32 v240, 64, v240                               // 000000006E78: 69E1E0C0
	s_nop 0                                                    // 000000006E7C: BF800000
	v_cndmask_b32_e64 v140, v69, v140, s[40:41]                // 000000006E80: D100008C 00A31945
	v_cmp_le_u32_e64 s[40:41], v241, v41                       // 000000006E88: D0CB0028 000253F1
	v_add_u32_e32 v241, 64, v241                               // 000000006E90: 69E3E2C0
	s_nop 0                                                    // 000000006E94: BF800000
	v_cndmask_b32_e64 v141, v69, v141, s[40:41]                // 000000006E98: D100008D 00A31B45
	v_cmp_le_u32_e64 s[40:41], v242, v41                       // 000000006EA0: D0CB0028 000253F2
	v_add_u32_e32 v242, 64, v242                               // 000000006EA8: 69E5E4C0
	s_nop 0                                                    // 000000006EAC: BF800000
	v_cndmask_b32_e64 v142, v69, v142, s[40:41]                // 000000006EB0: D100008E 00A31D45
	v_cmp_le_u32_e64 s[40:41], v243, v41                       // 000000006EB8: D0CB0028 000253F3
	v_add_u32_e32 v243, 64, v243                               // 000000006EC0: 69E7E6C0
	s_nop 0                                                    // 000000006EC4: BF800000
	v_cndmask_b32_e64 v143, v69, v143, s[40:41]                // 000000006EC8: D100008F 00A31F45

0000000000006ed0 <label_1334>:
	s_add_u32 s90, s91, s90                                    // 000000006ED0: 805A5A5B
	v_mov_b32_e32 v62, v128                                    // 000000006ED4: 7E7C0380
	v_max3_f32 v62, v128, v129, v62                            // 000000006ED8: D1D3003E 04FB0380
	v_max3_f32 v62, v130, v131, v62                            // 000000006EE0: D1D3003E 04FB0782
	v_max3_f32 v62, v132, v133, v62                            // 000000006EE8: D1D3003E 04FB0B84
	v_max3_f32 v62, v134, v135, v62                            // 000000006EF0: D1D3003E 04FB0F86
	v_max3_f32 v62, v136, v137, v62                            // 000000006EF8: D1D3003E 04FB1388
	v_max3_f32 v62, v138, v139, v62                            // 000000006F00: D1D3003E 04FB178A
	v_max3_f32 v62, v140, v141, v62                            // 000000006F08: D1D3003E 04FB1B8C
	v_max3_f32 v62, v142, v143, v62                            // 000000006F10: D1D3003E 04FB1F8E
	ds_write_b32 v11, v62 offset:16896                         // 000000006F18: D81A4200 00003E0B
	buffer_load_dwordx4 a[24:27], v28, s[16:19], 0 offen       // 000000006F20: E05C1000 8084181C
	v_mul_u32_u24_dpp v41, v19, v68 row_newbcast:1 row_mask:0xf bank_mask:0xf// 000000006F28: 105288FA FF015113
	v_mul_u32_u24_dpp v42, v19, v68 row_newbcast:5 row_mask:0xf bank_mask:0xf// 000000006F30: 105488FA FF015513
	v_mul_u32_u24_dpp v43, v19, v68 row_newbcast:9 row_mask:0xf bank_mask:0xf// 000000006F38: 105688FA FF015913
	v_mul_u32_u24_dpp v44, v19, v68 row_newbcast:13 row_mask:0xf bank_mask:0xf// 000000006F40: 105888FA FF015D13
	v_add_u32_e32 v33, v41, v7                                 // 000000006F48: 68420F29
	v_add_u32_e32 v34, v42, v7                                 // 000000006F4C: 68440F2A
	v_add_u32_e32 v35, v43, v7                                 // 000000006F50: 68460F2B
	v_add_u32_e32 v36, v44, v7                                 // 000000006F54: 68480F2C
	v_mul_f32_e32 v224, v63, v224                              // 000000006F58: 0BC1C13F
	v_mul_f32_e32 v225, v63, v225                              // 000000006F5C: 0BC3C33F
	v_mul_f32_e32 v226, v63, v226                              // 000000006F60: 0BC5C53F
	v_mul_f32_e32 v227, v63, v227                              // 000000006F64: 0BC7C73F
	v_mul_f32_e32 v228, v63, v228                              // 000000006F68: 0BC9C93F
	v_mul_f32_e32 v229, v63, v229                              // 000000006F6C: 0BCBCB3F
	v_mul_f32_e32 v230, v63, v230                              // 000000006F70: 0BCDCD3F
	v_mul_f32_e32 v231, v63, v231                              // 000000006F74: 0BCFCF3F
	s_waitcnt lgkmcnt(0)                                       // 000000006F78: BF8CC07F
	s_barrier                                                  // 000000006F7C: BF8A0000
	ds_read_b32 v80, v10 offset:16896                          // 000000006F80: D86C4200 5000000A
	ds_read_b32 v81, v10 offset:16960                          // 000000006F88: D86C4240 5100000A
	ds_read_b32 v82, v10 offset:17024                          // 000000006F90: D86C4280 5200000A
	ds_read_b32 v83, v10 offset:17088                          // 000000006F98: D86C42C0 5300000A
	ds_read_b32 v84, v10 offset:17152                          // 000000006FA0: D86C4300 5400000A
	ds_read_b32 v85, v10 offset:17216                          // 000000006FA8: D86C4340 5500000A
	ds_read_b32 v86, v10 offset:17280                          // 000000006FB0: D86C4380 5600000A
	ds_read_b32 v87, v10 offset:17344                          // 000000006FB8: D86C43C0 5700000A
	ds_read_b32 v88, v10 offset:17408                          // 000000006FC0: D86C4400 5800000A
	ds_read_b32 v89, v10 offset:17472                          // 000000006FC8: D86C4440 5900000A
	ds_read_b32 v90, v10 offset:17536                          // 000000006FD0: D86C4480 5A00000A
	ds_read_b32 v91, v10 offset:17600                          // 000000006FD8: D86C44C0 5B00000A
	ds_read_b32 v92, v10 offset:17664                          // 000000006FE0: D86C4500 5C00000A
	ds_read_b32 v93, v10 offset:17728                          // 000000006FE8: D86C4540 5D00000A
	ds_read_b32 v94, v10 offset:17792                          // 000000006FF0: D86C4580 5E00000A
	ds_read_b32 v95, v10 offset:17856                          // 000000006FF8: D86C45C0 5F00000A
	buffer_load_dwordx4 a[28:31], v28, s[16:19], 0 offen offset:1024// 000000007000: E05C1400 80841C1C
	v_mul_f32_e32 v192, v58, v192                              // 000000007008: 0B81813A
	v_mul_f32_e32 v193, v58, v193                              // 00000000700C: 0B83833A
	v_mul_f32_e32 v194, v58, v194                              // 000000007010: 0B85853A
	v_mul_f32_e32 v195, v58, v195                              // 000000007014: 0B87873A
	v_mul_f32_e32 v196, v58, v196                              // 000000007018: 0B89893A
	v_mul_f32_e32 v197, v58, v197                              // 00000000701C: 0B8B8B3A
	v_mul_f32_e32 v198, v58, v198                              // 000000007020: 0B8D8D3A
	v_mul_f32_e32 v199, v58, v199                              // 000000007024: 0B8F8F3A
	s_waitcnt lgkmcnt(0)                                       // 000000007028: BF8CC07F
	v_max3_f32 v62, v80, v81, v62                              // 00000000702C: D1D3003E 04FAA350
	v_max3_f32 v62, v82, v83, v62                              // 000000007034: D1D3003E 04FAA752
	v_max3_f32 v62, v84, v85, v62                              // 00000000703C: D1D3003E 04FAAB54
	v_max3_f32 v62, v86, v87, v62                              // 000000007044: D1D3003E 04FAAF56
	v_max3_f32 v62, v88, v89, v62                              // 00000000704C: D1D3003E 04FAB358
	v_max3_f32 v62, v90, v91, v62                              // 000000007054: D1D3003E 04FAB75A
	v_max3_f32 v62, v92, v93, v62                              // 00000000705C: D1D3003E 04FABB5C
	v_max3_f32 v62, v94, v95, v62                              // 000000007064: D1D3003E 04FABF5E
	buffer_load_dwordx4 a[64:67], v33, s[20:23], 0 offen       // 00000000706C: E05C1000 80854021
	v_mov_b32_e32 v41, 0xff800000                              // 000000007074: 7E5202FF FF800000
	v_cmp_eq_u32_e64 s[40:41], v41, v14                        // 00000000707C: D0CA0028 00021D29
	s_nop 1                                                    // 000000007084: BF800001
	v_max_f32_e32 v18, v62, v14                                // 000000007088: 16241D3E
	v_mul_f32_e32 v67, s64, v18                                // 00000000708C: 0A862440
	v_fma_f32 v128, v128, s64, -v67                            // 000000007090: D1CB0080 850C8180
	v_fma_f32 v129, v129, s64, -v67                            // 000000007098: D1CB0081 850C8181
	v_fma_f32 v130, v130, s64, -v67                            // 0000000070A0: D1CB0082 850C8182
	v_fma_f32 v131, v131, s64, -v67                            // 0000000070A8: D1CB0083 850C8183
	v_fma_f32 v132, v132, s64, -v67                            // 0000000070B0: D1CB0084 850C8184
	v_fma_f32 v133, v133, s64, -v67                            // 0000000070B8: D1CB0085 850C8185
	v_fma_f32 v134, v134, s64, -v67                            // 0000000070C0: D1CB0086 850C8186
	v_fma_f32 v135, v135, s64, -v67                            // 0000000070C8: D1CB0087 850C8187
	v_fma_f32 v136, v136, s64, -v67                            // 0000000070D0: D1CB0088 850C8188
	v_fma_f32 v137, v137, s64, -v67                            // 0000000070D8: D1CB0089 850C8189
	v_fma_f32 v138, v138, s64, -v67                            // 0000000070E0: D1CB008A 850C818A
	v_fma_f32 v139, v139, s64, -v67                            // 0000000070E8: D1CB008B 850C818B
	v_fma_f32 v140, v140, s64, -v67                            // 0000000070F0: D1CB008C 850C818C
	v_fma_f32 v141, v141, s64, -v67                            // 0000000070F8: D1CB008D 850C818D
	v_fma_f32 v142, v142, s64, -v67                            // 000000007100: D1CB008E 850C818E
	v_fma_f32 v143, v143, s64, -v67                            // 000000007108: D1CB008F 850C818F
	buffer_load_dwordx4 a[68:71], v34, s[20:23], 0 offen       // 000000007110: E05C1000 80854422
	v_exp_f32_e32 v128, v128                                   // 000000007118: 7F004180
	v_exp_f32_e32 v129, v129                                   // 00000000711C: 7F024181
	v_exp_f32_e32 v130, v130                                   // 000000007120: 7F044182
	v_exp_f32_e32 v131, v131                                   // 000000007124: 7F064183
	v_exp_f32_e32 v132, v132                                   // 000000007128: 7F084184
	v_exp_f32_e32 v133, v133                                   // 00000000712C: 7F0A4185
	v_exp_f32_e32 v134, v134                                   // 000000007130: 7F0C4186
	v_exp_f32_e32 v135, v135                                   // 000000007134: 7F0E4187
	v_exp_f32_e32 v136, v136                                   // 000000007138: 7F104188
	v_exp_f32_e32 v137, v137                                   // 00000000713C: 7F124189
	v_exp_f32_e32 v138, v138                                   // 000000007140: 7F14418A
	v_exp_f32_e32 v139, v139                                   // 000000007144: 7F16418B
	v_exp_f32_e32 v140, v140                                   // 000000007148: 7F18418C
	v_exp_f32_e32 v141, v141                                   // 00000000714C: 7F1A418D
	v_exp_f32_e32 v142, v142                                   // 000000007150: 7F1C418E
	v_exp_f32_e32 v143, v143                                   // 000000007154: 7F1E418F
	buffer_load_dwordx4 a[72:75], v35, s[20:23], 0 offen       // 000000007158: E05C1000 80854823
	v_mul_f32_dpp v240, v252, v128 quad_perm:[0,0,0,0] row_mask:0xf bank_mask:0xf// 000000007160: 0BE100FA FF0000FC
	v_mul_f32_dpp v241, v252, v129 quad_perm:[1,1,1,1] row_mask:0xf bank_mask:0xf// 000000007168: 0BE302FA FF0055FC
	v_mul_f32_dpp v242, v252, v130 quad_perm:[2,2,2,2] row_mask:0xf bank_mask:0xf// 000000007170: 0BE504FA FF00AAFC
	v_mul_f32_dpp v243, v252, v131 quad_perm:[3,3,3,3] row_mask:0xf bank_mask:0xf// 000000007178: 0BE706FA FF00FFFC
	v_mul_f32_dpp v244, v253, v132 quad_perm:[0,0,0,0] row_mask:0xf bank_mask:0xf// 000000007180: 0BE908FA FF0000FD
	v_mul_f32_dpp v245, v253, v133 quad_perm:[1,1,1,1] row_mask:0xf bank_mask:0xf// 000000007188: 0BEB0AFA FF0055FD
	v_mul_f32_dpp v246, v253, v134 quad_perm:[2,2,2,2] row_mask:0xf bank_mask:0xf// 000000007190: 0BED0CFA FF00AAFD
	v_mul_f32_dpp v247, v253, v135 quad_perm:[3,3,3,3] row_mask:0xf bank_mask:0xf// 000000007198: 0BEF0EFA FF00FFFD
	v_mul_f32_dpp v248, v254, v136 quad_perm:[0,0,0,0] row_mask:0xf bank_mask:0xf// 0000000071A0: 0BF110FA FF0000FE
	v_mul_f32_dpp v249, v254, v137 quad_perm:[1,1,1,1] row_mask:0xf bank_mask:0xf// 0000000071A8: 0BF312FA FF0055FE
	v_mul_f32_dpp v250, v254, v138 quad_perm:[2,2,2,2] row_mask:0xf bank_mask:0xf// 0000000071B0: 0BF514FA FF00AAFE
	v_mul_f32_dpp v251, v254, v139 quad_perm:[3,3,3,3] row_mask:0xf bank_mask:0xf// 0000000071B8: 0BF716FA FF00FFFE
	v_mul_f32_dpp v252, v255, v140 quad_perm:[0,0,0,0] row_mask:0xf bank_mask:0xf// 0000000071C0: 0BF918FA FF0000FF
	v_mul_f32_dpp v253, v255, v141 quad_perm:[1,1,1,1] row_mask:0xf bank_mask:0xf// 0000000071C8: 0BFB1AFA FF0055FF
	v_mul_f32_dpp v254, v255, v142 quad_perm:[2,2,2,2] row_mask:0xf bank_mask:0xf// 0000000071D0: 0BFD1CFA FF00AAFF
	v_mul_f32_dpp v255, v255, v143 quad_perm:[3,3,3,3] row_mask:0xf bank_mask:0xf// 0000000071D8: 0BFF1EFA FF00FFFF
	v_mov_b32_e32 v62, 0x358637bd                              // 0000000071E0: 7E7C02FF 358637BD
	v_max3_f32 v62, |v240|, |v241|, v62                        // 0000000071E8: D1D3033E 04FBE3F0
	v_max3_f32 v62, |v242|, |v243|, v62                        // 0000000071F0: D1D3033E 04FBE7F2
	v_max3_f32 v62, |v244|, |v245|, v62                        // 0000000071F8: D1D3033E 04FBEBF4
	v_max3_f32 v62, |v246|, |v247|, v62                        // 000000007200: D1D3033E 04FBEFF6
	v_max3_f32 v62, |v248|, |v249|, v62                        // 000000007208: D1D3033E 04FBF3F8
	v_max3_f32 v62, |v250|, |v251|, v62                        // 000000007210: D1D3033E 04FBF7FA
	v_max3_f32 v62, |v252|, |v253|, v62                        // 000000007218: D1D3033E 04FBFBFC
	v_max3_f32 v62, |v254|, |v255|, v62                        // 000000007220: D1D3033E 04FBFFFE
	buffer_load_dwordx4 a[76:79], v36, s[20:23], 0 offen       // 000000007228: E05C1000 80854C24
	ds_write_b32 v11, v62 offset:20992                         // 000000007230: D81A5200 00003E0B
	v_sub_f32_e32 v63, v14, v18                                // 000000007238: 047E250E
	v_cndmask_b32_e64 v63, v63, 0, s[40:41]                    // 00000000723C: D100003F 00A1013F
	v_mov_b32_e32 v14, v18                                     // 000000007244: 7E1C0312
	v_mul_f32_e32 v63, s64, v63                                // 000000007248: 0A7E7E40
	v_exp_f32_e32 v63, v63                                     // 00000000724C: 7E7E413F
	s_waitcnt lgkmcnt(0)                                       // 000000007250: BF8CC07F
	s_barrier                                                  // 000000007254: BF8A0000
	ds_read_b32 v80, v10 offset:20992                          // 000000007258: D86C5200 5000000A
	ds_read_b32 v81, v10 offset:21056                          // 000000007260: D86C5240 5100000A
	ds_read_b32 v82, v10 offset:21120                          // 000000007268: D86C5280 5200000A
	ds_read_b32 v83, v10 offset:21184                          // 000000007270: D86C52C0 5300000A
	ds_read_b32 v84, v10 offset:21248                          // 000000007278: D86C5300 5400000A
	ds_read_b32 v85, v10 offset:21312                          // 000000007280: D86C5340 5500000A
	ds_read_b32 v86, v10 offset:21376                          // 000000007288: D86C5380 5600000A
	ds_read_b32 v87, v10 offset:21440                          // 000000007290: D86C53C0 5700000A
	ds_read_b32 v88, v10 offset:21504                          // 000000007298: D86C5400 5800000A
	ds_read_b32 v89, v10 offset:21568                          // 0000000072A0: D86C5440 5900000A
	ds_read_b32 v90, v10 offset:21632                          // 0000000072A8: D86C5480 5A00000A
	ds_read_b32 v91, v10 offset:21696                          // 0000000072B0: D86C54C0 5B00000A
	ds_read_b32 v92, v10 offset:21760                          // 0000000072B8: D86C5500 5C00000A
	ds_read_b32 v93, v10 offset:21824                          // 0000000072C0: D86C5540 5D00000A
	ds_read_b32 v94, v10 offset:21888                          // 0000000072C8: D86C5580 5E00000A
	ds_read_b32 v95, v10 offset:21952                          // 0000000072D0: D86C55C0 5F00000A
	v_mul_f32_e32 v47, v63, v47                                // 0000000072D8: 0A5E5F3F
	v_mov_b32_e32 v18, v128                                    // 0000000072DC: 7E240380
	v_add_f32_e32 v18, v129, v18                               // 0000000072E0: 02242581
	v_add_f32_e32 v18, v130, v18                               // 0000000072E4: 02242582
	v_add_f32_e32 v18, v131, v18                               // 0000000072E8: 02242583
	v_add_f32_e32 v18, v132, v18                               // 0000000072EC: 02242584
	v_add_f32_e32 v18, v133, v18                               // 0000000072F0: 02242585
	v_add_f32_e32 v18, v134, v18                               // 0000000072F4: 02242586
	v_add_f32_e32 v18, v135, v18                               // 0000000072F8: 02242587
	v_add_f32_e32 v18, v136, v18                               // 0000000072FC: 02242588
	v_add_f32_e32 v18, v137, v18                               // 000000007300: 02242589
	v_add_f32_e32 v18, v138, v18                               // 000000007304: 0224258A
	v_add_f32_e32 v18, v139, v18                               // 000000007308: 0224258B
	v_add_f32_e32 v18, v140, v18                               // 00000000730C: 0224258C
	v_add_f32_e32 v18, v141, v18                               // 000000007310: 0224258D
	v_add_f32_e32 v18, v142, v18                               // 000000007314: 0224258E
	v_add_f32_e32 v18, v143, v18                               // 000000007318: 0224258F
	v_add_f32_e32 v47, v18, v47                                // 00000000731C: 025E5F12
	s_waitcnt lgkmcnt(0)                                       // 000000007320: BF8CC07F
	v_max3_f32 v62, |v80|, |v81|, v62                          // 000000007324: D1D3033E 04FAA350
	v_max3_f32 v62, |v82|, |v83|, v62                          // 00000000732C: D1D3033E 04FAA752
	v_max3_f32 v62, |v84|, |v85|, v62                          // 000000007334: D1D3033E 04FAAB54
	v_max3_f32 v62, |v86|, |v87|, v62                          // 00000000733C: D1D3033E 04FAAF56
	v_max3_f32 v62, |v88|, |v89|, v62                          // 000000007344: D1D3033E 04FAB358
	v_max3_f32 v62, |v90|, |v91|, v62                          // 00000000734C: D1D3033E 04FAB75A
	v_max3_f32 v62, |v92|, |v93|, v62                          // 000000007354: D1D3033E 04FABB5C
	v_max3_f32 v62, |v94|, |v95|, v62                          // 00000000735C: D1D3033E 04FABF5E
	s_nop 2                                                    // 000000007364: BF800002
	v_rcp_f32_e32 v62, v62                                     // 000000007368: 7E7C453E
	s_nop 1                                                    // 00000000736C: BF800001
	v_mul_f32_e32 v62, 0x43e00000, v62                         // 000000007370: 0A7C7CFF 43E00000
	v_mul_f32_e32 v128, v62, v240                              // 000000007378: 0B01E13E
	v_mul_f32_e32 v129, v62, v241                              // 00000000737C: 0B03E33E
	v_mul_f32_e32 v130, v62, v242                              // 000000007380: 0B05E53E
	v_mul_f32_e32 v131, v62, v243                              // 000000007384: 0B07E73E
	v_mul_f32_e32 v132, v62, v244                              // 000000007388: 0B09E93E
	v_mul_f32_e32 v133, v62, v245                              // 00000000738C: 0B0BEB3E
	v_mul_f32_e32 v134, v62, v246                              // 000000007390: 0B0DED3E
	v_mul_f32_e32 v135, v62, v247                              // 000000007394: 0B0FEF3E
	v_mul_f32_e32 v136, v62, v248                              // 000000007398: 0B11F13E
	v_mul_f32_e32 v137, v62, v249                              // 00000000739C: 0B13F33E
	v_mul_f32_e32 v138, v62, v250                              // 0000000073A0: 0B15F53E
	v_mul_f32_e32 v139, v62, v251                              // 0000000073A4: 0B17F73E
	v_mul_f32_e32 v140, v62, v252                              // 0000000073A8: 0B19F93E
	v_mul_f32_e32 v141, v62, v253                              // 0000000073AC: 0B1BFB3E
	v_mul_f32_e32 v142, v62, v254                              // 0000000073B0: 0B1DFD3E
	v_mul_f32_e32 v143, v62, v255                              // 0000000073B4: 0B1FFF3E
	v_cvt_pk_fp8_f32 v128, v128, v129                          // 0000000073B8: D2A20080 00030380
	v_cvt_pk_fp8_f32 v128, v130, v131 op_sel:[0,0,1]           // 0000000073C0: D2A24080 00030782
	v_cvt_pk_fp8_f32 v129, v132, v133                          // 0000000073C8: D2A20081 00030B84
	v_cvt_pk_fp8_f32 v129, v134, v135 op_sel:[0,0,1]           // 0000000073D0: D2A24081 00030F86
	v_cvt_pk_fp8_f32 v130, v136, v137                          // 0000000073D8: D2A20082 00031388
	v_cvt_pk_fp8_f32 v130, v138, v139 op_sel:[0,0,1]           // 0000000073E0: D2A24082 0003178A
	v_cvt_pk_fp8_f32 v131, v140, v141                          // 0000000073E8: D2A20083 00031B8C
	v_cvt_pk_fp8_f32 v131, v142, v143 op_sel:[0,0,1]           // 0000000073F0: D2A24083 00031F8E
	ds_write_b32 v13, v128 offset:25088                        // 0000000073F8: D81A6200 0000800D
	ds_write_b32 v13, v129 offset:26112                        // 000000007400: D81A6600 0000810D
	ds_write_b32 v13, v130 offset:27136                        // 000000007408: D81A6A00 0000820D
	ds_write_b32 v13, v131 offset:28160                        // 000000007410: D81A6E00 0000830D
	v_add_f32_e32 v224, v224, v192                             // 000000007418: 03C181E0
	v_add_f32_e32 v225, v225, v193                             // 00000000741C: 03C383E1
	v_add_f32_e32 v226, v226, v194                             // 000000007420: 03C585E2
	v_add_f32_e32 v227, v227, v195                             // 000000007424: 03C787E3
	v_add_f32_e32 v228, v228, v196                             // 000000007428: 03C989E4
	v_add_f32_e32 v229, v229, v197                             // 00000000742C: 03CB8BE5
	v_add_f32_e32 v230, v230, v198                             // 000000007430: 03CD8DE6
	v_add_f32_e32 v231, v231, v199                             // 000000007434: 03CF8FE7
	v_rcp_f32_e32 v58, v62                                     // 000000007438: 7E74453E
	s_waitcnt lgkmcnt(0)                                       // 00000000743C: BF8CC07F
	s_barrier                                                  // 000000007440: BF8A0000
	ds_read_b64 v[128:129], v12 offset:25088                   // 000000007444: D8EC6200 8000000C
	ds_read_b64 v[130:131], v12 offset:25216                   // 00000000744C: D8EC6280 8200000C
	ds_read_b64 v[132:133], v12 offset:26112                   // 000000007454: D8EC6600 8400000C
	ds_read_b64 v[134:135], v12 offset:26240                   // 00000000745C: D8EC6680 8600000C
	ds_read_b64 v[136:137], v12 offset:27136                   // 000000007464: D8EC6A00 8800000C
	ds_read_b64 v[138:139], v12 offset:27264                   // 00000000746C: D8EC6A80 8A00000C
	ds_read_b64 v[140:141], v12 offset:28160                   // 000000007474: D8EC6E00 8C00000C
	ds_read_b64 v[142:143], v12 offset:28288                   // 00000000747C: D8EC6E80 8E00000C
	s_waitcnt vmcnt(15)                                        // 000000007484: BF8C0F7F
	s_waitcnt lgkmcnt(7)                                       // 000000007488: BF8CC77F
	v_mfma_f32_16x16x32_fp8_fp8 v[192:195], a[96:97], v[128:129], 0// 00000000748C: D3F300C0 0A030160
	s_waitcnt lgkmcnt(6)                                       // 000000007494: BF8CC67F
	v_mfma_f32_16x16x32_fp8_fp8 v[192:195], a[98:99], v[130:131], v[192:195]// 000000007498: D3F300C0 0F030562
	buffer_load_dwordx4 a[80:83], v33, s[20:23], 0 offen offset:1024// 0000000074A0: E05C1400 80855021
	s_waitcnt lgkmcnt(5)                                       // 0000000074A8: BF8CC57F
	v_mfma_f32_16x16x32_fp8_fp8 v[192:195], a[100:101], v[132:133], v[192:195]// 0000000074AC: D3F300C0 0F030964
	s_waitcnt lgkmcnt(4)                                       // 0000000074B4: BF8CC47F
	v_mfma_f32_16x16x32_fp8_fp8 v[192:195], a[102:103], v[134:135], v[192:195]// 0000000074B8: D3F300C0 0F030D66
	s_waitcnt lgkmcnt(3)                                       // 0000000074C0: BF8CC37F
	v_mfma_f32_16x16x32_fp8_fp8 v[192:195], a[104:105], v[136:137], v[192:195]// 0000000074C4: D3F300C0 0F031168
	s_waitcnt lgkmcnt(2)                                       // 0000000074CC: BF8CC27F
	v_mfma_f32_16x16x32_fp8_fp8 v[192:195], a[106:107], v[138:139], v[192:195]// 0000000074D0: D3F300C0 0F03156A
	buffer_load_dwordx4 a[84:87], v34, s[20:23], 0 offen offset:1024// 0000000074D8: E05C1400 80855422
	s_waitcnt lgkmcnt(1)                                       // 0000000074E0: BF8CC17F
	v_mfma_f32_16x16x32_fp8_fp8 v[192:195], a[108:109], v[140:141], v[192:195]// 0000000074E4: D3F300C0 0F03196C
	s_waitcnt lgkmcnt(0)                                       // 0000000074EC: BF8CC07F
	v_mfma_f32_16x16x32_fp8_fp8 v[192:195], a[110:111], v[142:143], v[192:195]// 0000000074F0: D3F300C0 0F031D6E
	v_mfma_f32_16x16x32_fp8_fp8 v[196:199], a[112:113], v[128:129], 0// 0000000074F8: D3F300C4 0A030170
	v_mfma_f32_16x16x32_fp8_fp8 v[196:199], a[114:115], v[130:131], v[196:199]// 000000007500: D3F300C4 0F130572
	buffer_load_dwordx4 a[88:91], v35, s[20:23], 0 offen offset:1024// 000000007508: E05C1400 80855823
	v_mfma_f32_16x16x32_fp8_fp8 v[196:199], a[116:117], v[132:133], v[196:199]// 000000007510: D3F300C4 0F130974
	v_mfma_f32_16x16x32_fp8_fp8 v[196:199], a[118:119], v[134:135], v[196:199]// 000000007518: D3F300C4 0F130D76
	v_mfma_f32_16x16x32_fp8_fp8 v[196:199], a[120:121], v[136:137], v[196:199]// 000000007520: D3F300C4 0F131178
	v_mfma_f32_16x16x32_fp8_fp8 v[196:199], a[122:123], v[138:139], v[196:199]// 000000007528: D3F300C4 0F13157A
	buffer_load_dwordx4 a[92:95], v36, s[20:23], 0 offen offset:1024// 000000007530: E05C1400 80855C24
	v_mfma_f32_16x16x32_fp8_fp8 v[196:199], a[124:125], v[140:141], v[196:199]// 000000007538: D3F300C4 0F13197C
	s_lshr_b32 s57, s70, 4                                     // 000000007540: 8F398446
	s_add_u32 s57, 48, s57                                     // 000000007544: 803939B0
	v_mfma_f32_16x16x32_fp8_fp8 v[196:199], a[126:127], v[142:143], v[196:199]// 000000007548: D3F300C4 0F131D7E
	s_cmp_ge_u32 s57, s73                                      // 000000007550: BF094939
	s_cselect_b32 s56, 0, s56                                  // 000000007554: 85383880
	v_add_u32_e32 v1, s56, v1                                  // 000000007558: 68020238
	s_addk_i32 s70, 0x100                                      // 00000000755C: B7460100
	s_cmp_lt_i32 s70, s71                                      // 000000007560: BF044746
	s_cbranch_scc0 label_14DB                                  // 000000007564: BF840001
	s_branch label_0F52                                        // 000000007568: BF82FA77

000000000000756c <label_14DB>:
	s_nop 0                                                    // 00000000756C: BF800000
	s_nop 0                                                    // 000000007570: BF800000
	s_branch label_1A67                                        // 000000007574: BF820589

0000000000007578 <label_14DE>:
	s_waitcnt vmcnt(8) lgkmcnt(0)                              // 000000007578: BF8C0078
	v_mul_u32_u24_dpp v41, v20, v68 row_newbcast:0 row_mask:0xf bank_mask:0xf// 00000000757C: 105288FA FF015014
	v_mul_u32_u24_dpp v42, v20, v68 row_newbcast:4 row_mask:0xf bank_mask:0xf// 000000007584: 105488FA FF015414
	v_mul_u32_u24_dpp v43, v20, v68 row_newbcast:8 row_mask:0xf bank_mask:0xf// 00000000758C: 105688FA FF015814
	v_mul_u32_u24_dpp v44, v20, v68 row_newbcast:12 row_mask:0xf bank_mask:0xf// 000000007594: 105888FA FF015C14
	v_add_u32_e32 v29, v41, v6                                 // 00000000759C: 683A0D29
	v_add_u32_e32 v30, v42, v6                                 // 0000000075A0: 683C0D2A
	v_add_u32_e32 v31, v43, v6                                 // 0000000075A4: 683E0D2B
	v_add_u32_e32 v32, v44, v6                                 // 0000000075A8: 68400D2C
	v_mul_u32_u24_dpp v41, v20, v78 quad_perm:[0,0,0,0] row_mask:0xf bank_mask:0xf// 0000000075AC: 10529CFA FF000014
	v_add_u32_e32 v3, v41, v74                                 // 0000000075B4: 68069529
	v_mul_u32_u24_dpp v41, v20, v78 quad_perm:[0,0,0,0] row_mask:0xf bank_mask:0xf// 0000000075B8: 10529CFA FF000014
	v_add_u32_e32 v71, v41, v75                                // 0000000075C0: 688E9729
	v_mfma_f32_16x16x32_fp8_fp8 v[128:131], a[0:1], v[96:97], 0// 0000000075C4: D3F30080 0A02C100
	buffer_load_dwordx4 a[32:35], v29, s[16:19], 0 offen       // 0000000075CC: E05C1000 8084201D
	v_mfma_f32_16x16x32_fp8_fp8 v[128:131], a[2:3], v[98:99], v[128:131]// 0000000075D4: D3F30080 0E02C502
	v_mfma_f32_16x16x32_fp8_fp8 v[128:131], a[4:5], v[100:101], v[128:131]// 0000000075DC: D3F30080 0E02C904
	buffer_load_dword v19, v1, s[24:27], 0 offen               // 0000000075E4: E0501000 80061301
	v_mfma_f32_16x16x32_fp8_fp8 v[128:131], a[6:7], v[102:103], v[128:131]// 0000000075EC: D3F30080 0E02CD06
	v_mfma_f32_16x16x32_fp8_fp8 v[132:135], a[8:9], v[96:97], 0// 0000000075F4: D3F30084 0A02C108
	buffer_load_dwordx4 a[36:39], v29, s[16:19], 0 offen offset:1024// 0000000075FC: E05C1400 8084241D
	v_mfma_f32_16x16x32_fp8_fp8 v[132:135], a[10:11], v[98:99], v[132:135]// 000000007604: D3F30084 0E12C50A
	v_mfma_f32_16x16x32_fp8_fp8 v[132:135], a[12:13], v[100:101], v[132:135]// 00000000760C: D3F30084 0E12C90C
	v_mfma_f32_16x16x32_fp8_fp8 v[132:135], a[14:15], v[102:103], v[132:135]// 000000007614: D3F30084 0E12CD0E
	v_mfma_f32_16x16x32_fp8_fp8 v[136:139], a[16:17], v[96:97], 0// 00000000761C: D3F30088 0A02C110
	buffer_load_dwordx4 a[40:43], v30, s[16:19], 0 offen       // 000000007624: E05C1000 8084281E
	v_mfma_f32_16x16x32_fp8_fp8 v[136:139], a[18:19], v[98:99], v[136:139]// 00000000762C: D3F30088 0E22C512
	v_mfma_f32_16x16x32_fp8_fp8 v[136:139], a[20:21], v[100:101], v[136:139]// 000000007634: D3F30088 0E22C914
	v_mfma_f32_16x16x32_fp8_fp8 v[136:139], a[22:23], v[102:103], v[136:139]// 00000000763C: D3F30088 0E22CD16
	v_mfma_f32_16x16x32_fp8_fp8 v[140:143], a[24:25], v[96:97], 0// 000000007644: D3F3008C 0A02C118
	buffer_load_dwordx4 a[44:47], v30, s[16:19], 0 offen offset:1024// 00000000764C: E05C1400 80842C1E
	v_mfma_f32_16x16x32_fp8_fp8 v[140:143], a[26:27], v[98:99], v[140:143]// 000000007654: D3F3008C 0E32C51A
	v_mfma_f32_16x16x32_fp8_fp8 v[140:143], a[28:29], v[100:101], v[140:143]// 00000000765C: D3F3008C 0E32C91C
	v_mfma_f32_16x16x32_fp8_fp8 v[140:143], a[30:31], v[102:103], v[140:143]// 000000007664: D3F3008C 0E32CD1E
	buffer_load_dword v53, v3, s[32:35], 0 offen               // 00000000766C: E0501000 80083503
	v_mov_b32_dpp v41, v52 row_shr:4 row_mask:0xf bank_mask:0xf// 000000007674: 7E5202FA FF011434
	v_mov_b32_dpp v42, v52 row_shl:4 row_mask:0xf bank_mask:0xf// 00000000767C: 7E5402FA FF010434
	v_cndmask_b32_e64 v248, v52, v41, s[44:45]                 // 000000007684: D10000F8 00B25334
	v_cndmask_b32_e64 v249, v42, v52, s[44:45]                 // 00000000768C: D10000F9 00B2692A
	v_mov_b32_dpp v41, v248 row_shr:8 row_mask:0xf bank_mask:0xf// 000000007694: 7E5202FA FF0118F8
	v_mov_b32_dpp v42, v248 row_shl:8 row_mask:0xf bank_mask:0xf// 00000000769C: 7E5402FA FF0108F8
	v_mov_b32_dpp v43, v249 row_shr:8 row_mask:0xf bank_mask:0xf// 0000000076A4: 7E5602FA FF0118F9
	v_mov_b32_dpp v44, v249 row_shl:8 row_mask:0xf bank_mask:0xf// 0000000076AC: 7E5802FA FF0108F9
	v_mov_b32_e32 v45, v248                                    // 0000000076B4: 7E5A03F8
	v_mov_b32_e32 v46, v249                                    // 0000000076B8: 7E5C03F9
	v_cndmask_b32_e64 v248, v45, v41, s[42:43]                 // 0000000076BC: D10000F8 00AA532D
	v_cndmask_b32_e64 v250, v45, v42, s[78:79]                 // 0000000076C4: D10000FA 013A552D
	v_cndmask_b32_e64 v249, v46, v43, s[42:43]                 // 0000000076CC: D10000F9 00AA572E
	v_cndmask_b32_e64 v251, v46, v44, s[78:79]                 // 0000000076D4: D10000FB 013A592E
	v_mov_b32_dpp v41, v72 row_shr:4 row_mask:0xf bank_mask:0xf// 0000000076DC: 7E5202FA FF011448
	v_mov_b32_dpp v42, v72 row_shl:4 row_mask:0xf bank_mask:0xf// 0000000076E4: 7E5402FA FF010448
	v_cndmask_b32_e64 v252, v72, v41, s[44:45]                 // 0000000076EC: D10000FC 00B25348
	v_cndmask_b32_e64 v253, v42, v72, s[44:45]                 // 0000000076F4: D10000FD 00B2912A
	v_mov_b32_dpp v41, v252 row_shr:8 row_mask:0xf bank_mask:0xf// 0000000076FC: 7E5202FA FF0118FC
	v_mov_b32_dpp v42, v252 row_shl:8 row_mask:0xf bank_mask:0xf// 000000007704: 7E5402FA FF0108FC
	v_mov_b32_dpp v43, v253 row_shr:8 row_mask:0xf bank_mask:0xf// 00000000770C: 7E5602FA FF0118FD
	v_mov_b32_dpp v44, v253 row_shl:8 row_mask:0xf bank_mask:0xf// 000000007714: 7E5802FA FF0108FD
	v_mov_b32_e32 v45, v252                                    // 00000000771C: 7E5A03FC
	v_mov_b32_e32 v46, v253                                    // 000000007720: 7E5C03FD
	v_cndmask_b32_e64 v252, v45, v41, s[42:43]                 // 000000007724: D10000FC 00AA532D
	v_cndmask_b32_e64 v254, v45, v42, s[78:79]                 // 00000000772C: D10000FE 013A552D
	v_cndmask_b32_e64 v253, v46, v43, s[42:43]                 // 000000007734: D10000FD 00AA572E
	v_cndmask_b32_e64 v255, v46, v44, s[78:79]                 // 00000000773C: D10000FF 013A592E
	buffer_load_dword v73, v71, s[36:39], 0 offen              // 000000007744: E0501000 80094947
	v_mul_f32_e32 v128, v54, v128                              // 00000000774C: 0B010136
	v_mul_f32_e32 v129, v54, v129                              // 000000007750: 0B030336
	v_mul_f32_e32 v130, v54, v130                              // 000000007754: 0B050536
	v_mul_f32_e32 v131, v54, v131                              // 000000007758: 0B070736
	v_mul_f32_e32 v132, v54, v132                              // 00000000775C: 0B090936
	v_mul_f32_e32 v133, v54, v133                              // 000000007760: 0B0B0B36
	v_mul_f32_e32 v134, v54, v134                              // 000000007764: 0B0D0D36
	v_mul_f32_e32 v135, v54, v135                              // 000000007768: 0B0F0F36
	v_mul_f32_e32 v136, v54, v136                              // 00000000776C: 0B111136
	v_mul_f32_e32 v137, v54, v137                              // 000000007770: 0B131336
	v_mul_f32_e32 v138, v54, v138                              // 000000007774: 0B151536
	v_mul_f32_e32 v139, v54, v139                              // 000000007778: 0B171736
	v_mul_f32_e32 v140, v54, v140                              // 00000000777C: 0B191936
	v_mul_f32_e32 v141, v54, v141                              // 000000007780: 0B1B1B36
	v_mul_f32_e32 v142, v54, v142                              // 000000007784: 0B1D1D36
	v_mul_f32_e32 v143, v54, v143                              // 000000007788: 0B1F1F36
	buffer_load_dwordx4 a[48:51], v31, s[16:19], 0 offen       // 00000000778C: E05C1000 8084301F
	v_mul_f32_dpp v128, v248, v128 quad_perm:[0,0,0,0] row_mask:0xf bank_mask:0xf// 000000007794: 0B0100FA FF0000F8
	v_mul_f32_dpp v129, v248, v129 quad_perm:[1,1,1,1] row_mask:0xf bank_mask:0xf// 00000000779C: 0B0302FA FF0055F8
	v_mul_f32_dpp v130, v248, v130 quad_perm:[2,2,2,2] row_mask:0xf bank_mask:0xf// 0000000077A4: 0B0504FA FF00AAF8
	v_mul_f32_dpp v131, v248, v131 quad_perm:[3,3,3,3] row_mask:0xf bank_mask:0xf// 0000000077AC: 0B0706FA FF00FFF8
	v_mul_f32_dpp v132, v249, v132 quad_perm:[0,0,0,0] row_mask:0xf bank_mask:0xf// 0000000077B4: 0B0908FA FF0000F9
	v_mul_f32_dpp v133, v249, v133 quad_perm:[1,1,1,1] row_mask:0xf bank_mask:0xf// 0000000077BC: 0B0B0AFA FF0055F9
	v_mul_f32_dpp v134, v249, v134 quad_perm:[2,2,2,2] row_mask:0xf bank_mask:0xf// 0000000077C4: 0B0D0CFA FF00AAF9
	v_mul_f32_dpp v135, v249, v135 quad_perm:[3,3,3,3] row_mask:0xf bank_mask:0xf// 0000000077CC: 0B0F0EFA FF00FFF9
	v_mul_f32_dpp v136, v250, v136 quad_perm:[0,0,0,0] row_mask:0xf bank_mask:0xf// 0000000077D4: 0B1110FA FF0000FA
	v_mul_f32_dpp v137, v250, v137 quad_perm:[1,1,1,1] row_mask:0xf bank_mask:0xf// 0000000077DC: 0B1312FA FF0055FA
	v_mul_f32_dpp v138, v250, v138 quad_perm:[2,2,2,2] row_mask:0xf bank_mask:0xf// 0000000077E4: 0B1514FA FF00AAFA
	v_mul_f32_dpp v139, v250, v139 quad_perm:[3,3,3,3] row_mask:0xf bank_mask:0xf// 0000000077EC: 0B1716FA FF00FFFA
	v_mul_f32_dpp v140, v251, v140 quad_perm:[0,0,0,0] row_mask:0xf bank_mask:0xf// 0000000077F4: 0B1918FA FF0000FB
	v_mul_f32_dpp v141, v251, v141 quad_perm:[1,1,1,1] row_mask:0xf bank_mask:0xf// 0000000077FC: 0B1B1AFA FF0055FB
	v_mul_f32_dpp v142, v251, v142 quad_perm:[2,2,2,2] row_mask:0xf bank_mask:0xf// 000000007804: 0B1D1CFA FF00AAFB
	v_mul_f32_dpp v143, v251, v143 quad_perm:[3,3,3,3] row_mask:0xf bank_mask:0xf// 00000000780C: 0B1F1EFA FF00FFFB
	buffer_load_dwordx4 a[52:55], v31, s[16:19], 0 offen offset:1024// 000000007814: E05C1400 8084341F
	s_cmp_le_i32 s90, s89                                      // 00000000781C: BF05595A
	s_cbranch_scc1 label_15FC                                  // 000000007820: BF850073
	v_mov_b32_e32 v69, 0xff800000                              // 000000007824: 7E8A02FF FF800000
	s_mov_b32 s60, s90                                         // 00000000782C: BEBC005A
	s_add_u32 s61, s89, 0xff                                   // 000000007830: 803DFF59 000000FF
	v_mov_b32_e32 v41, s61                                     // 000000007838: 7E52023D
	v_lshrrev_b32_e32 v240, 4, v0                              // 00000000783C: 21E00084
	v_mul_i32_i24_e32 v240, 4, v240                            // 000000007840: 0DE1E084
	v_add_u32_e32 v240, s60, v240                              // 000000007844: 69E1E03C
	v_and_b32_e32 v42, 15, v0                                  // 000000007848: 2654008F
	v_lshrrev_b32_e32 v42, 3, v42                              // 00000000784C: 20545483
	s_mov_b32 s61, 0                                           // 000000007850: BEBD0080
	s_mul_i32 s60, 16, s7                                      // 000000007854: 923C0790
	v_add_u32_e32 v42, s61, v42                                // 000000007858: 6854543D
	v_sub_u32_e32 v240, v240, v42                              // 00000000785C: 6BE055F0
	v_add_u32_e32 v240, s60, v240                              // 000000007860: 69E1E03C
	v_add_u32_e32 v241, 1, v240                                // 000000007864: 69E3E081
	v_add_u32_e32 v242, 2, v240                                // 000000007868: 69E5E082
	v_add_u32_e32 v243, 3, v240                                // 00000000786C: 69E7E083
	v_cmp_le_u32_e64 s[40:41], v240, v41                       // 000000007870: D0CB0028 000253F0
	v_add_u32_e32 v240, 64, v240                               // 000000007878: 69E1E0C0
	s_nop 0                                                    // 00000000787C: BF800000
	v_cndmask_b32_e64 v128, v69, v128, s[40:41]                // 000000007880: D1000080 00A30145
	v_cmp_le_u32_e64 s[40:41], v241, v41                       // 000000007888: D0CB0028 000253F1
	v_add_u32_e32 v241, 64, v241                               // 000000007890: 69E3E2C0
	s_nop 0                                                    // 000000007894: BF800000
	v_cndmask_b32_e64 v129, v69, v129, s[40:41]                // 000000007898: D1000081 00A30345
	v_cmp_le_u32_e64 s[40:41], v242, v41                       // 0000000078A0: D0CB0028 000253F2
	v_add_u32_e32 v242, 64, v242                               // 0000000078A8: 69E5E4C0
	s_nop 0                                                    // 0000000078AC: BF800000
	v_cndmask_b32_e64 v130, v69, v130, s[40:41]                // 0000000078B0: D1000082 00A30545
	v_cmp_le_u32_e64 s[40:41], v243, v41                       // 0000000078B8: D0CB0028 000253F3
	v_add_u32_e32 v243, 64, v243                               // 0000000078C0: 69E7E6C0
	s_nop 0                                                    // 0000000078C4: BF800000
	v_cndmask_b32_e64 v131, v69, v131, s[40:41]                // 0000000078C8: D1000083 00A30745
	v_cmp_le_u32_e64 s[40:41], v240, v41                       // 0000000078D0: D0CB0028 000253F0
	v_add_u32_e32 v240, 64, v240                               // 0000000078D8: 69E1E0C0
	s_nop 0                                                    // 0000000078DC: BF800000
	v_cndmask_b32_e64 v132, v69, v132, s[40:41]                // 0000000078E0: D1000084 00A30945
	v_cmp_le_u32_e64 s[40:41], v241, v41                       // 0000000078E8: D0CB0028 000253F1
	v_add_u32_e32 v241, 64, v241                               // 0000000078F0: 69E3E2C0
	s_nop 0                                                    // 0000000078F4: BF800000
	v_cndmask_b32_e64 v133, v69, v133, s[40:41]                // 0000000078F8: D1000085 00A30B45
	v_cmp_le_u32_e64 s[40:41], v242, v41                       // 000000007900: D0CB0028 000253F2
	v_add_u32_e32 v242, 64, v242                               // 000000007908: 69E5E4C0
	s_nop 0                                                    // 00000000790C: BF800000
	v_cndmask_b32_e64 v134, v69, v134, s[40:41]                // 000000007910: D1000086 00A30D45
	v_cmp_le_u32_e64 s[40:41], v243, v41                       // 000000007918: D0CB0028 000253F3
	v_add_u32_e32 v243, 64, v243                               // 000000007920: 69E7E6C0
	s_nop 0                                                    // 000000007924: BF800000
	v_cndmask_b32_e64 v135, v69, v135, s[40:41]                // 000000007928: D1000087 00A30F45
	v_cmp_le_u32_e64 s[40:41], v240, v41                       // 000000007930: D0CB0028 000253F0
	v_add_u32_e32 v240, 64, v240                               // 000000007938: 69E1E0C0
	s_nop 0                                                    // 00000000793C: BF800000
	v_cndmask_b32_e64 v136, v69, v136, s[40:41]                // 000000007940: D1000088 00A31145
	v_cmp_le_u32_e64 s[40:41], v241, v41                       // 000000007948: D0CB0028 000253F1
	v_add_u32_e32 v241, 64, v241                               // 000000007950: 69E3E2C0
	s_nop 0                                                    // 000000007954: BF800000
	v_cndmask_b32_e64 v137, v69, v137, s[40:41]                // 000000007958: D1000089 00A31345
	v_cmp_le_u32_e64 s[40:41], v242, v41                       // 000000007960: D0CB0028 000253F2
	v_add_u32_e32 v242, 64, v242                               // 000000007968: 69E5E4C0
	s_nop 0                                                    // 00000000796C: BF800000
	v_cndmask_b32_e64 v138, v69, v138, s[40:41]                // 000000007970: D100008A 00A31545
	v_cmp_le_u32_e64 s[40:41], v243, v41                       // 000000007978: D0CB0028 000253F3
	v_add_u32_e32 v243, 64, v243                               // 000000007980: 69E7E6C0
	s_nop 0                                                    // 000000007984: BF800000
	v_cndmask_b32_e64 v139, v69, v139, s[40:41]                // 000000007988: D100008B 00A31745
	v_cmp_le_u32_e64 s[40:41], v240, v41                       // 000000007990: D0CB0028 000253F0
	v_add_u32_e32 v240, 64, v240                               // 000000007998: 69E1E0C0
	s_nop 0                                                    // 00000000799C: BF800000
	v_cndmask_b32_e64 v140, v69, v140, s[40:41]                // 0000000079A0: D100008C 00A31945
	v_cmp_le_u32_e64 s[40:41], v241, v41                       // 0000000079A8: D0CB0028 000253F1
	v_add_u32_e32 v241, 64, v241                               // 0000000079B0: 69E3E2C0
	s_nop 0                                                    // 0000000079B4: BF800000
	v_cndmask_b32_e64 v141, v69, v141, s[40:41]                // 0000000079B8: D100008D 00A31B45
	v_cmp_le_u32_e64 s[40:41], v242, v41                       // 0000000079C0: D0CB0028 000253F2
	v_add_u32_e32 v242, 64, v242                               // 0000000079C8: 69E5E4C0
	s_nop 0                                                    // 0000000079CC: BF800000
	v_cndmask_b32_e64 v142, v69, v142, s[40:41]                // 0000000079D0: D100008E 00A31D45
	v_cmp_le_u32_e64 s[40:41], v243, v41                       // 0000000079D8: D0CB0028 000253F3
	v_add_u32_e32 v243, 64, v243                               // 0000000079E0: 69E7E6C0
	s_nop 0                                                    // 0000000079E4: BF800000
	v_cndmask_b32_e64 v143, v69, v143, s[40:41]                // 0000000079E8: D100008F 00A31F45

00000000000079f0 <label_15FC>:
	s_add_u32 s90, s91, s90                                    // 0000000079F0: 805A5A5B
	v_mov_b32_e32 v62, v128                                    // 0000000079F4: 7E7C0380
	v_max3_f32 v62, v128, v129, v62                            // 0000000079F8: D1D3003E 04FB0380
	v_max3_f32 v62, v130, v131, v62                            // 000000007A00: D1D3003E 04FB0782
	v_max3_f32 v62, v132, v133, v62                            // 000000007A08: D1D3003E 04FB0B84
	v_max3_f32 v62, v134, v135, v62                            // 000000007A10: D1D3003E 04FB0F86
	v_max3_f32 v62, v136, v137, v62                            // 000000007A18: D1D3003E 04FB1388
	v_max3_f32 v62, v138, v139, v62                            // 000000007A20: D1D3003E 04FB178A
	v_max3_f32 v62, v140, v141, v62                            // 000000007A28: D1D3003E 04FB1B8C
	v_max3_f32 v62, v142, v143, v62                            // 000000007A30: D1D3003E 04FB1F8E
	ds_write_b32 v11, v62 offset:16896                         // 000000007A38: D81A4200 00003E0B
	buffer_load_dwordx4 a[56:59], v32, s[16:19], 0 offen       // 000000007A40: E05C1000 80843820
	v_mul_u32_u24_dpp v41, v20, v68 row_newbcast:1 row_mask:0xf bank_mask:0xf// 000000007A48: 105288FA FF015114
	v_mul_u32_u24_dpp v42, v20, v68 row_newbcast:5 row_mask:0xf bank_mask:0xf// 000000007A50: 105488FA FF015514
	v_mul_u32_u24_dpp v43, v20, v68 row_newbcast:9 row_mask:0xf bank_mask:0xf// 000000007A58: 105688FA FF015914
	v_mul_u32_u24_dpp v44, v20, v68 row_newbcast:13 row_mask:0xf bank_mask:0xf// 000000007A60: 105888FA FF015D14
	v_add_u32_e32 v37, v41, v7                                 // 000000007A68: 684A0F29
	v_add_u32_e32 v38, v42, v7                                 // 000000007A6C: 684C0F2A
	v_add_u32_e32 v39, v43, v7                                 // 000000007A70: 684E0F2B
	v_add_u32_e32 v40, v44, v7                                 // 000000007A74: 68500F2C
	v_mul_f32_e32 v224, v63, v224                              // 000000007A78: 0BC1C13F
	v_mul_f32_e32 v225, v63, v225                              // 000000007A7C: 0BC3C33F
	v_mul_f32_e32 v226, v63, v226                              // 000000007A80: 0BC5C53F
	v_mul_f32_e32 v227, v63, v227                              // 000000007A84: 0BC7C73F
	v_mul_f32_e32 v228, v63, v228                              // 000000007A88: 0BC9C93F
	v_mul_f32_e32 v229, v63, v229                              // 000000007A8C: 0BCBCB3F
	v_mul_f32_e32 v230, v63, v230                              // 000000007A90: 0BCDCD3F
	v_mul_f32_e32 v231, v63, v231                              // 000000007A94: 0BCFCF3F
	s_waitcnt lgkmcnt(0)                                       // 000000007A98: BF8CC07F
	s_barrier                                                  // 000000007A9C: BF8A0000
	ds_read_b32 v80, v10 offset:16896                          // 000000007AA0: D86C4200 5000000A
	ds_read_b32 v81, v10 offset:16960                          // 000000007AA8: D86C4240 5100000A
	ds_read_b32 v82, v10 offset:17024                          // 000000007AB0: D86C4280 5200000A
	ds_read_b32 v83, v10 offset:17088                          // 000000007AB8: D86C42C0 5300000A
	ds_read_b32 v84, v10 offset:17152                          // 000000007AC0: D86C4300 5400000A
	ds_read_b32 v85, v10 offset:17216                          // 000000007AC8: D86C4340 5500000A
	ds_read_b32 v86, v10 offset:17280                          // 000000007AD0: D86C4380 5600000A
	ds_read_b32 v87, v10 offset:17344                          // 000000007AD8: D86C43C0 5700000A
	ds_read_b32 v88, v10 offset:17408                          // 000000007AE0: D86C4400 5800000A
	ds_read_b32 v89, v10 offset:17472                          // 000000007AE8: D86C4440 5900000A
	ds_read_b32 v90, v10 offset:17536                          // 000000007AF0: D86C4480 5A00000A
	ds_read_b32 v91, v10 offset:17600                          // 000000007AF8: D86C44C0 5B00000A
	ds_read_b32 v92, v10 offset:17664                          // 000000007B00: D86C4500 5C00000A
	ds_read_b32 v93, v10 offset:17728                          // 000000007B08: D86C4540 5D00000A
	ds_read_b32 v94, v10 offset:17792                          // 000000007B10: D86C4580 5E00000A
	ds_read_b32 v95, v10 offset:17856                          // 000000007B18: D86C45C0 5F00000A
	buffer_load_dwordx4 a[60:63], v32, s[16:19], 0 offen offset:1024// 000000007B20: E05C1400 80843C20
	v_mul_f32_e32 v192, v58, v192                              // 000000007B28: 0B81813A
	v_mul_f32_e32 v193, v58, v193                              // 000000007B2C: 0B83833A
	v_mul_f32_e32 v194, v58, v194                              // 000000007B30: 0B85853A
	v_mul_f32_e32 v195, v58, v195                              // 000000007B34: 0B87873A
	v_mul_f32_e32 v196, v58, v196                              // 000000007B38: 0B89893A
	v_mul_f32_e32 v197, v58, v197                              // 000000007B3C: 0B8B8B3A
	v_mul_f32_e32 v198, v58, v198                              // 000000007B40: 0B8D8D3A
	v_mul_f32_e32 v199, v58, v199                              // 000000007B44: 0B8F8F3A
	s_waitcnt lgkmcnt(0)                                       // 000000007B48: BF8CC07F
	v_max3_f32 v62, v80, v81, v62                              // 000000007B4C: D1D3003E 04FAA350
	v_max3_f32 v62, v82, v83, v62                              // 000000007B54: D1D3003E 04FAA752
	v_max3_f32 v62, v84, v85, v62                              // 000000007B5C: D1D3003E 04FAAB54
	v_max3_f32 v62, v86, v87, v62                              // 000000007B64: D1D3003E 04FAAF56
	v_max3_f32 v62, v88, v89, v62                              // 000000007B6C: D1D3003E 04FAB358
	v_max3_f32 v62, v90, v91, v62                              // 000000007B74: D1D3003E 04FAB75A
	v_max3_f32 v62, v92, v93, v62                              // 000000007B7C: D1D3003E 04FABB5C
	v_max3_f32 v62, v94, v95, v62                              // 000000007B84: D1D3003E 04FABF5E
	buffer_load_dwordx4 a[96:99], v37, s[20:23], 0 offen       // 000000007B8C: E05C1000 80856025
	v_mov_b32_e32 v41, 0xff800000                              // 000000007B94: 7E5202FF FF800000
	v_cmp_eq_u32_e64 s[40:41], v41, v14                        // 000000007B9C: D0CA0028 00021D29
	s_nop 1                                                    // 000000007BA4: BF800001
	v_max_f32_e32 v18, v62, v14                                // 000000007BA8: 16241D3E
	v_mul_f32_e32 v67, s64, v18                                // 000000007BAC: 0A862440
	v_fma_f32 v128, v128, s64, -v67                            // 000000007BB0: D1CB0080 850C8180
	v_fma_f32 v129, v129, s64, -v67                            // 000000007BB8: D1CB0081 850C8181
	v_fma_f32 v130, v130, s64, -v67                            // 000000007BC0: D1CB0082 850C8182
	v_fma_f32 v131, v131, s64, -v67                            // 000000007BC8: D1CB0083 850C8183
	v_fma_f32 v132, v132, s64, -v67                            // 000000007BD0: D1CB0084 850C8184
	v_fma_f32 v133, v133, s64, -v67                            // 000000007BD8: D1CB0085 850C8185
	v_fma_f32 v134, v134, s64, -v67                            // 000000007BE0: D1CB0086 850C8186
	v_fma_f32 v135, v135, s64, -v67                            // 000000007BE8: D1CB0087 850C8187
	v_fma_f32 v136, v136, s64, -v67                            // 000000007BF0: D1CB0088 850C8188
	v_fma_f32 v137, v137, s64, -v67                            // 000000007BF8: D1CB0089 850C8189
	v_fma_f32 v138, v138, s64, -v67                            // 000000007C00: D1CB008A 850C818A
	v_fma_f32 v139, v139, s64, -v67                            // 000000007C08: D1CB008B 850C818B
	v_fma_f32 v140, v140, s64, -v67                            // 000000007C10: D1CB008C 850C818C
	v_fma_f32 v141, v141, s64, -v67                            // 000000007C18: D1CB008D 850C818D
	v_fma_f32 v142, v142, s64, -v67                            // 000000007C20: D1CB008E 850C818E
	v_fma_f32 v143, v143, s64, -v67                            // 000000007C28: D1CB008F 850C818F
	buffer_load_dwordx4 a[100:103], v38, s[20:23], 0 offen     // 000000007C30: E05C1000 80856426
	v_exp_f32_e32 v128, v128                                   // 000000007C38: 7F004180
	v_exp_f32_e32 v129, v129                                   // 000000007C3C: 7F024181
	v_exp_f32_e32 v130, v130                                   // 000000007C40: 7F044182
	v_exp_f32_e32 v131, v131                                   // 000000007C44: 7F064183
	v_exp_f32_e32 v132, v132                                   // 000000007C48: 7F084184
	v_exp_f32_e32 v133, v133                                   // 000000007C4C: 7F0A4185
	v_exp_f32_e32 v134, v134                                   // 000000007C50: 7F0C4186
	v_exp_f32_e32 v135, v135                                   // 000000007C54: 7F0E4187
	v_exp_f32_e32 v136, v136                                   // 000000007C58: 7F104188
	v_exp_f32_e32 v137, v137                                   // 000000007C5C: 7F124189
	v_exp_f32_e32 v138, v138                                   // 000000007C60: 7F14418A
	v_exp_f32_e32 v139, v139                                   // 000000007C64: 7F16418B
	v_exp_f32_e32 v140, v140                                   // 000000007C68: 7F18418C
	v_exp_f32_e32 v141, v141                                   // 000000007C6C: 7F1A418D
	v_exp_f32_e32 v142, v142                                   // 000000007C70: 7F1C418E
	v_exp_f32_e32 v143, v143                                   // 000000007C74: 7F1E418F
	buffer_load_dwordx4 a[104:107], v39, s[20:23], 0 offen     // 000000007C78: E05C1000 80856827
	v_mul_f32_dpp v240, v252, v128 quad_perm:[0,0,0,0] row_mask:0xf bank_mask:0xf// 000000007C80: 0BE100FA FF0000FC
	v_mul_f32_dpp v241, v252, v129 quad_perm:[1,1,1,1] row_mask:0xf bank_mask:0xf// 000000007C88: 0BE302FA FF0055FC
	v_mul_f32_dpp v242, v252, v130 quad_perm:[2,2,2,2] row_mask:0xf bank_mask:0xf// 000000007C90: 0BE504FA FF00AAFC
	v_mul_f32_dpp v243, v252, v131 quad_perm:[3,3,3,3] row_mask:0xf bank_mask:0xf// 000000007C98: 0BE706FA FF00FFFC
	v_mul_f32_dpp v244, v253, v132 quad_perm:[0,0,0,0] row_mask:0xf bank_mask:0xf// 000000007CA0: 0BE908FA FF0000FD
	v_mul_f32_dpp v245, v253, v133 quad_perm:[1,1,1,1] row_mask:0xf bank_mask:0xf// 000000007CA8: 0BEB0AFA FF0055FD
	v_mul_f32_dpp v246, v253, v134 quad_perm:[2,2,2,2] row_mask:0xf bank_mask:0xf// 000000007CB0: 0BED0CFA FF00AAFD
	v_mul_f32_dpp v247, v253, v135 quad_perm:[3,3,3,3] row_mask:0xf bank_mask:0xf// 000000007CB8: 0BEF0EFA FF00FFFD
	v_mul_f32_dpp v248, v254, v136 quad_perm:[0,0,0,0] row_mask:0xf bank_mask:0xf// 000000007CC0: 0BF110FA FF0000FE
	v_mul_f32_dpp v249, v254, v137 quad_perm:[1,1,1,1] row_mask:0xf bank_mask:0xf// 000000007CC8: 0BF312FA FF0055FE
	v_mul_f32_dpp v250, v254, v138 quad_perm:[2,2,2,2] row_mask:0xf bank_mask:0xf// 000000007CD0: 0BF514FA FF00AAFE
	v_mul_f32_dpp v251, v254, v139 quad_perm:[3,3,3,3] row_mask:0xf bank_mask:0xf// 000000007CD8: 0BF716FA FF00FFFE
	v_mul_f32_dpp v252, v255, v140 quad_perm:[0,0,0,0] row_mask:0xf bank_mask:0xf// 000000007CE0: 0BF918FA FF0000FF
	v_mul_f32_dpp v253, v255, v141 quad_perm:[1,1,1,1] row_mask:0xf bank_mask:0xf// 000000007CE8: 0BFB1AFA FF0055FF
	v_mul_f32_dpp v254, v255, v142 quad_perm:[2,2,2,2] row_mask:0xf bank_mask:0xf// 000000007CF0: 0BFD1CFA FF00AAFF
	v_mul_f32_dpp v255, v255, v143 quad_perm:[3,3,3,3] row_mask:0xf bank_mask:0xf// 000000007CF8: 0BFF1EFA FF00FFFF
	v_mov_b32_e32 v62, 0x358637bd                              // 000000007D00: 7E7C02FF 358637BD
	v_max3_f32 v62, |v240|, |v241|, v62                        // 000000007D08: D1D3033E 04FBE3F0
	v_max3_f32 v62, |v242|, |v243|, v62                        // 000000007D10: D1D3033E 04FBE7F2
	v_max3_f32 v62, |v244|, |v245|, v62                        // 000000007D18: D1D3033E 04FBEBF4
	v_max3_f32 v62, |v246|, |v247|, v62                        // 000000007D20: D1D3033E 04FBEFF6
	v_max3_f32 v62, |v248|, |v249|, v62                        // 000000007D28: D1D3033E 04FBF3F8
	v_max3_f32 v62, |v250|, |v251|, v62                        // 000000007D30: D1D3033E 04FBF7FA
	v_max3_f32 v62, |v252|, |v253|, v62                        // 000000007D38: D1D3033E 04FBFBFC
	v_max3_f32 v62, |v254|, |v255|, v62                        // 000000007D40: D1D3033E 04FBFFFE
	buffer_load_dwordx4 a[108:111], v40, s[20:23], 0 offen     // 000000007D48: E05C1000 80856C28
	ds_write_b32 v11, v62 offset:20992                         // 000000007D50: D81A5200 00003E0B
	v_sub_f32_e32 v63, v14, v18                                // 000000007D58: 047E250E
	v_cndmask_b32_e64 v63, v63, 0, s[40:41]                    // 000000007D5C: D100003F 00A1013F
	v_mov_b32_e32 v14, v18                                     // 000000007D64: 7E1C0312
	v_mul_f32_e32 v63, s64, v63                                // 000000007D68: 0A7E7E40
	v_exp_f32_e32 v63, v63                                     // 000000007D6C: 7E7E413F
	s_waitcnt lgkmcnt(0)                                       // 000000007D70: BF8CC07F
	s_barrier                                                  // 000000007D74: BF8A0000
	ds_read_b32 v80, v10 offset:20992                          // 000000007D78: D86C5200 5000000A
	ds_read_b32 v81, v10 offset:21056                          // 000000007D80: D86C5240 5100000A
	ds_read_b32 v82, v10 offset:21120                          // 000000007D88: D86C5280 5200000A
	ds_read_b32 v83, v10 offset:21184                          // 000000007D90: D86C52C0 5300000A
	ds_read_b32 v84, v10 offset:21248                          // 000000007D98: D86C5300 5400000A
	ds_read_b32 v85, v10 offset:21312                          // 000000007DA0: D86C5340 5500000A
	ds_read_b32 v86, v10 offset:21376                          // 000000007DA8: D86C5380 5600000A
	ds_read_b32 v87, v10 offset:21440                          // 000000007DB0: D86C53C0 5700000A
	ds_read_b32 v88, v10 offset:21504                          // 000000007DB8: D86C5400 5800000A
	ds_read_b32 v89, v10 offset:21568                          // 000000007DC0: D86C5440 5900000A
	ds_read_b32 v90, v10 offset:21632                          // 000000007DC8: D86C5480 5A00000A
	ds_read_b32 v91, v10 offset:21696                          // 000000007DD0: D86C54C0 5B00000A
	ds_read_b32 v92, v10 offset:21760                          // 000000007DD8: D86C5500 5C00000A
	ds_read_b32 v93, v10 offset:21824                          // 000000007DE0: D86C5540 5D00000A
	ds_read_b32 v94, v10 offset:21888                          // 000000007DE8: D86C5580 5E00000A
	ds_read_b32 v95, v10 offset:21952                          // 000000007DF0: D86C55C0 5F00000A
	v_mul_f32_e32 v47, v63, v47                                // 000000007DF8: 0A5E5F3F
	v_mov_b32_e32 v18, v128                                    // 000000007DFC: 7E240380
	v_add_f32_e32 v18, v129, v18                               // 000000007E00: 02242581
	v_add_f32_e32 v18, v130, v18                               // 000000007E04: 02242582
	v_add_f32_e32 v18, v131, v18                               // 000000007E08: 02242583
	v_add_f32_e32 v18, v132, v18                               // 000000007E0C: 02242584
	v_add_f32_e32 v18, v133, v18                               // 000000007E10: 02242585
	v_add_f32_e32 v18, v134, v18                               // 000000007E14: 02242586
	v_add_f32_e32 v18, v135, v18                               // 000000007E18: 02242587
	v_add_f32_e32 v18, v136, v18                               // 000000007E1C: 02242588
	v_add_f32_e32 v18, v137, v18                               // 000000007E20: 02242589
	v_add_f32_e32 v18, v138, v18                               // 000000007E24: 0224258A
	v_add_f32_e32 v18, v139, v18                               // 000000007E28: 0224258B
	v_add_f32_e32 v18, v140, v18                               // 000000007E2C: 0224258C
	v_add_f32_e32 v18, v141, v18                               // 000000007E30: 0224258D
	v_add_f32_e32 v18, v142, v18                               // 000000007E34: 0224258E
	v_add_f32_e32 v18, v143, v18                               // 000000007E38: 0224258F
	v_add_f32_e32 v47, v18, v47                                // 000000007E3C: 025E5F12
	s_waitcnt lgkmcnt(0)                                       // 000000007E40: BF8CC07F
	v_max3_f32 v62, |v80|, |v81|, v62                          // 000000007E44: D1D3033E 04FAA350
	v_max3_f32 v62, |v82|, |v83|, v62                          // 000000007E4C: D1D3033E 04FAA752
	v_max3_f32 v62, |v84|, |v85|, v62                          // 000000007E54: D1D3033E 04FAAB54
	v_max3_f32 v62, |v86|, |v87|, v62                          // 000000007E5C: D1D3033E 04FAAF56
	v_max3_f32 v62, |v88|, |v89|, v62                          // 000000007E64: D1D3033E 04FAB358
	v_max3_f32 v62, |v90|, |v91|, v62                          // 000000007E6C: D1D3033E 04FAB75A
	v_max3_f32 v62, |v92|, |v93|, v62                          // 000000007E74: D1D3033E 04FABB5C
	v_max3_f32 v62, |v94|, |v95|, v62                          // 000000007E7C: D1D3033E 04FABF5E
	s_nop 2                                                    // 000000007E84: BF800002
	v_rcp_f32_e32 v62, v62                                     // 000000007E88: 7E7C453E
	s_nop 1                                                    // 000000007E8C: BF800001
	v_mul_f32_e32 v62, 0x43e00000, v62                         // 000000007E90: 0A7C7CFF 43E00000
	v_mul_f32_e32 v128, v62, v240                              // 000000007E98: 0B01E13E
	v_mul_f32_e32 v129, v62, v241                              // 000000007E9C: 0B03E33E
	v_mul_f32_e32 v130, v62, v242                              // 000000007EA0: 0B05E53E
	v_mul_f32_e32 v131, v62, v243                              // 000000007EA4: 0B07E73E
	v_mul_f32_e32 v132, v62, v244                              // 000000007EA8: 0B09E93E
	v_mul_f32_e32 v133, v62, v245                              // 000000007EAC: 0B0BEB3E
	v_mul_f32_e32 v134, v62, v246                              // 000000007EB0: 0B0DED3E
	v_mul_f32_e32 v135, v62, v247                              // 000000007EB4: 0B0FEF3E
	v_mul_f32_e32 v136, v62, v248                              // 000000007EB8: 0B11F13E
	v_mul_f32_e32 v137, v62, v249                              // 000000007EBC: 0B13F33E
	v_mul_f32_e32 v138, v62, v250                              // 000000007EC0: 0B15F53E
	v_mul_f32_e32 v139, v62, v251                              // 000000007EC4: 0B17F73E
	v_mul_f32_e32 v140, v62, v252                              // 000000007EC8: 0B19F93E
	v_mul_f32_e32 v141, v62, v253                              // 000000007ECC: 0B1BFB3E
	v_mul_f32_e32 v142, v62, v254                              // 000000007ED0: 0B1DFD3E
	v_mul_f32_e32 v143, v62, v255                              // 000000007ED4: 0B1FFF3E
	v_cvt_pk_fp8_f32 v128, v128, v129                          // 000000007ED8: D2A20080 00030380
	v_cvt_pk_fp8_f32 v128, v130, v131 op_sel:[0,0,1]           // 000000007EE0: D2A24080 00030782
	v_cvt_pk_fp8_f32 v129, v132, v133                          // 000000007EE8: D2A20081 00030B84
	v_cvt_pk_fp8_f32 v129, v134, v135 op_sel:[0,0,1]           // 000000007EF0: D2A24081 00030F86
	v_cvt_pk_fp8_f32 v130, v136, v137                          // 000000007EF8: D2A20082 00031388
	v_cvt_pk_fp8_f32 v130, v138, v139 op_sel:[0,0,1]           // 000000007F00: D2A24082 0003178A
	v_cvt_pk_fp8_f32 v131, v140, v141                          // 000000007F08: D2A20083 00031B8C
	v_cvt_pk_fp8_f32 v131, v142, v143 op_sel:[0,0,1]           // 000000007F10: D2A24083 00031F8E
	ds_write_b32 v13, v128 offset:25088                        // 000000007F18: D81A6200 0000800D
	ds_write_b32 v13, v129 offset:26112                        // 000000007F20: D81A6600 0000810D
	ds_write_b32 v13, v130 offset:27136                        // 000000007F28: D81A6A00 0000820D
	ds_write_b32 v13, v131 offset:28160                        // 000000007F30: D81A6E00 0000830D
	v_add_f32_e32 v224, v224, v192                             // 000000007F38: 03C181E0
	v_add_f32_e32 v225, v225, v193                             // 000000007F3C: 03C383E1
	v_add_f32_e32 v226, v226, v194                             // 000000007F40: 03C585E2
	v_add_f32_e32 v227, v227, v195                             // 000000007F44: 03C787E3
	v_add_f32_e32 v228, v228, v196                             // 000000007F48: 03C989E4
	v_add_f32_e32 v229, v229, v197                             // 000000007F4C: 03CB8BE5
	v_add_f32_e32 v230, v230, v198                             // 000000007F50: 03CD8DE6
	v_add_f32_e32 v231, v231, v199                             // 000000007F54: 03CF8FE7
	v_rcp_f32_e32 v58, v62                                     // 000000007F58: 7E74453E
	s_waitcnt lgkmcnt(0)                                       // 000000007F5C: BF8CC07F
	s_barrier                                                  // 000000007F60: BF8A0000
	ds_read_b64 v[128:129], v12 offset:25088                   // 000000007F64: D8EC6200 8000000C
	ds_read_b64 v[130:131], v12 offset:25216                   // 000000007F6C: D8EC6280 8200000C
	ds_read_b64 v[132:133], v12 offset:26112                   // 000000007F74: D8EC6600 8400000C
	ds_read_b64 v[134:135], v12 offset:26240                   // 000000007F7C: D8EC6680 8600000C
	ds_read_b64 v[136:137], v12 offset:27136                   // 000000007F84: D8EC6A00 8800000C
	ds_read_b64 v[138:139], v12 offset:27264                   // 000000007F8C: D8EC6A80 8A00000C
	ds_read_b64 v[140:141], v12 offset:28160                   // 000000007F94: D8EC6E00 8C00000C
	ds_read_b64 v[142:143], v12 offset:28288                   // 000000007F9C: D8EC6E80 8E00000C
	s_waitcnt vmcnt(15)                                        // 000000007FA4: BF8C0F7F
	s_waitcnt lgkmcnt(7)                                       // 000000007FA8: BF8CC77F
	v_mfma_f32_16x16x32_fp8_fp8 v[192:195], a[64:65], v[128:129], 0// 000000007FAC: D3F300C0 0A030140
	buffer_load_dwordx4 a[112:115], v37, s[20:23], 0 offen offset:1024// 000000007FB4: E05C1400 80857025
	s_waitcnt lgkmcnt(6)                                       // 000000007FBC: BF8CC67F
	v_mfma_f32_16x16x32_fp8_fp8 v[192:195], a[66:67], v[130:131], v[192:195]// 000000007FC0: D3F300C0 0F030542
	s_waitcnt lgkmcnt(5)                                       // 000000007FC8: BF8CC57F
	v_mfma_f32_16x16x32_fp8_fp8 v[192:195], a[68:69], v[132:133], v[192:195]// 000000007FCC: D3F300C0 0F030944
	s_waitcnt lgkmcnt(4)                                       // 000000007FD4: BF8CC47F
	v_mfma_f32_16x16x32_fp8_fp8 v[192:195], a[70:71], v[134:135], v[192:195]// 000000007FD8: D3F300C0 0F030D46
	s_waitcnt lgkmcnt(3)                                       // 000000007FE0: BF8CC37F
	v_mfma_f32_16x16x32_fp8_fp8 v[192:195], a[72:73], v[136:137], v[192:195]// 000000007FE4: D3F300C0 0F031148
	buffer_load_dwordx4 a[116:119], v38, s[20:23], 0 offen offset:1024// 000000007FEC: E05C1400 80857426
	s_waitcnt lgkmcnt(2)                                       // 000000007FF4: BF8CC27F
	v_mfma_f32_16x16x32_fp8_fp8 v[192:195], a[74:75], v[138:139], v[192:195]// 000000007FF8: D3F300C0 0F03154A
	s_waitcnt lgkmcnt(1)                                       // 000000008000: BF8CC17F
	v_mfma_f32_16x16x32_fp8_fp8 v[192:195], a[76:77], v[140:141], v[192:195]// 000000008004: D3F300C0 0F03194C
	s_waitcnt lgkmcnt(0)                                       // 00000000800C: BF8CC07F
	v_mfma_f32_16x16x32_fp8_fp8 v[192:195], a[78:79], v[142:143], v[192:195]// 000000008010: D3F300C0 0F031D4E
	v_mfma_f32_16x16x32_fp8_fp8 v[196:199], a[80:81], v[128:129], 0// 000000008018: D3F300C4 0A030150
	buffer_load_dwordx4 a[120:123], v39, s[20:23], 0 offen offset:1024// 000000008020: E05C1400 80857827
	v_mfma_f32_16x16x32_fp8_fp8 v[196:199], a[82:83], v[130:131], v[196:199]// 000000008028: D3F300C4 0F130552
	v_mfma_f32_16x16x32_fp8_fp8 v[196:199], a[84:85], v[132:133], v[196:199]// 000000008030: D3F300C4 0F130954
	v_mfma_f32_16x16x32_fp8_fp8 v[196:199], a[86:87], v[134:135], v[196:199]// 000000008038: D3F300C4 0F130D56
	v_mfma_f32_16x16x32_fp8_fp8 v[196:199], a[88:89], v[136:137], v[196:199]// 000000008040: D3F300C4 0F131158
	buffer_load_dwordx4 a[124:127], v40, s[20:23], 0 offen offset:1024// 000000008048: E05C1400 80857C28
	v_mfma_f32_16x16x32_fp8_fp8 v[196:199], a[90:91], v[138:139], v[196:199]// 000000008050: D3F300C4 0F13155A
	v_mfma_f32_16x16x32_fp8_fp8 v[196:199], a[92:93], v[140:141], v[196:199]// 000000008058: D3F300C4 0F13195C
	s_lshr_b32 s57, s70, 4                                     // 000000008060: 8F398446
	s_add_u32 s57, 48, s57                                     // 000000008064: 803939B0
	v_mfma_f32_16x16x32_fp8_fp8 v[196:199], a[94:95], v[142:143], v[196:199]// 000000008068: D3F300C4 0F131D5E
	s_cmp_ge_u32 s57, s73                                      // 000000008070: BF094939
	s_cselect_b32 s56, 0, s56                                  // 000000008074: 85383880
	v_add_u32_e32 v1, s56, v1                                  // 000000008078: 68020238
	s_addk_i32 s70, 0x100                                      // 00000000807C: B7460100
	s_cmp_lt_i32 s70, s71                                      // 000000008080: BF044746
	s_cbranch_scc0 label_14DB                                  // 000000008084: BF84FD39
	s_waitcnt vmcnt(8) lgkmcnt(0)                              // 000000008088: BF8C0078
	v_mul_u32_u24_dpp v41, v19, v68 row_newbcast:0 row_mask:0xf bank_mask:0xf// 00000000808C: 105288FA FF015013
	v_mul_u32_u24_dpp v42, v19, v68 row_newbcast:4 row_mask:0xf bank_mask:0xf// 000000008094: 105488FA FF015413
	v_mul_u32_u24_dpp v43, v19, v68 row_newbcast:8 row_mask:0xf bank_mask:0xf// 00000000809C: 105688FA FF015813
	v_mul_u32_u24_dpp v44, v19, v68 row_newbcast:12 row_mask:0xf bank_mask:0xf// 0000000080A4: 105888FA FF015C13
	v_add_u32_e32 v25, v41, v6                                 // 0000000080AC: 68320D29
	v_add_u32_e32 v26, v42, v6                                 // 0000000080B0: 68340D2A
	v_add_u32_e32 v27, v43, v6                                 // 0000000080B4: 68360D2B
	v_add_u32_e32 v28, v44, v6                                 // 0000000080B8: 68380D2C
	v_mul_u32_u24_dpp v41, v19, v78 quad_perm:[0,0,0,0] row_mask:0xf bank_mask:0xf// 0000000080BC: 10529CFA FF000013
	v_add_u32_e32 v2, v41, v74                                 // 0000000080C4: 68049529
	v_mul_u32_u24_dpp v41, v19, v78 quad_perm:[0,0,0,0] row_mask:0xf bank_mask:0xf// 0000000080C8: 10529CFA FF000013
	v_add_u32_e32 v70, v41, v75                                // 0000000080D0: 688C9729
	v_mfma_f32_16x16x32_fp8_fp8 v[128:131], a[32:33], v[96:97], 0// 0000000080D4: D3F30080 0A02C120
	buffer_load_dwordx4 a[0:3], v25, s[16:19], 0 offen         // 0000000080DC: E05C1000 80840019
	v_mfma_f32_16x16x32_fp8_fp8 v[128:131], a[34:35], v[98:99], v[128:131]// 0000000080E4: D3F30080 0E02C522
	v_mfma_f32_16x16x32_fp8_fp8 v[128:131], a[36:37], v[100:101], v[128:131]// 0000000080EC: D3F30080 0E02C924
	buffer_load_dword v20, v1, s[24:27], 0 offen               // 0000000080F4: E0501000 80061401
	v_mfma_f32_16x16x32_fp8_fp8 v[128:131], a[38:39], v[102:103], v[128:131]// 0000000080FC: D3F30080 0E02CD26
	v_mfma_f32_16x16x32_fp8_fp8 v[132:135], a[40:41], v[96:97], 0// 000000008104: D3F30084 0A02C128
	buffer_load_dwordx4 a[4:7], v25, s[16:19], 0 offen offset:1024// 00000000810C: E05C1400 80840419
	v_mfma_f32_16x16x32_fp8_fp8 v[132:135], a[42:43], v[98:99], v[132:135]// 000000008114: D3F30084 0E12C52A
	v_mfma_f32_16x16x32_fp8_fp8 v[132:135], a[44:45], v[100:101], v[132:135]// 00000000811C: D3F30084 0E12C92C
	v_mfma_f32_16x16x32_fp8_fp8 v[132:135], a[46:47], v[102:103], v[132:135]// 000000008124: D3F30084 0E12CD2E
	v_mfma_f32_16x16x32_fp8_fp8 v[136:139], a[48:49], v[96:97], 0// 00000000812C: D3F30088 0A02C130
	buffer_load_dwordx4 a[8:11], v26, s[16:19], 0 offen        // 000000008134: E05C1000 8084081A
	v_mfma_f32_16x16x32_fp8_fp8 v[136:139], a[50:51], v[98:99], v[136:139]// 00000000813C: D3F30088 0E22C532
	v_mfma_f32_16x16x32_fp8_fp8 v[136:139], a[52:53], v[100:101], v[136:139]// 000000008144: D3F30088 0E22C934
	v_mfma_f32_16x16x32_fp8_fp8 v[136:139], a[54:55], v[102:103], v[136:139]// 00000000814C: D3F30088 0E22CD36
	v_mfma_f32_16x16x32_fp8_fp8 v[140:143], a[56:57], v[96:97], 0// 000000008154: D3F3008C 0A02C138
	buffer_load_dwordx4 a[12:15], v26, s[16:19], 0 offen offset:1024// 00000000815C: E05C1400 80840C1A
	v_mfma_f32_16x16x32_fp8_fp8 v[140:143], a[58:59], v[98:99], v[140:143]// 000000008164: D3F3008C 0E32C53A
	v_mfma_f32_16x16x32_fp8_fp8 v[140:143], a[60:61], v[100:101], v[140:143]// 00000000816C: D3F3008C 0E32C93C
	v_mfma_f32_16x16x32_fp8_fp8 v[140:143], a[62:63], v[102:103], v[140:143]// 000000008174: D3F3008C 0E32CD3E
	buffer_load_dword v52, v2, s[32:35], 0 offen               // 00000000817C: E0501000 80083402
	v_mov_b32_dpp v41, v53 row_shr:4 row_mask:0xf bank_mask:0xf// 000000008184: 7E5202FA FF011435
	v_mov_b32_dpp v42, v53 row_shl:4 row_mask:0xf bank_mask:0xf// 00000000818C: 7E5402FA FF010435
	v_cndmask_b32_e64 v248, v53, v41, s[44:45]                 // 000000008194: D10000F8 00B25335
	v_cndmask_b32_e64 v249, v42, v53, s[44:45]                 // 00000000819C: D10000F9 00B26B2A
	v_mov_b32_dpp v41, v248 row_shr:8 row_mask:0xf bank_mask:0xf// 0000000081A4: 7E5202FA FF0118F8
	v_mov_b32_dpp v42, v248 row_shl:8 row_mask:0xf bank_mask:0xf// 0000000081AC: 7E5402FA FF0108F8
	v_mov_b32_dpp v43, v249 row_shr:8 row_mask:0xf bank_mask:0xf// 0000000081B4: 7E5602FA FF0118F9
	v_mov_b32_dpp v44, v249 row_shl:8 row_mask:0xf bank_mask:0xf// 0000000081BC: 7E5802FA FF0108F9
	v_mov_b32_e32 v45, v248                                    // 0000000081C4: 7E5A03F8
	v_mov_b32_e32 v46, v249                                    // 0000000081C8: 7E5C03F9
	v_cndmask_b32_e64 v248, v45, v41, s[42:43]                 // 0000000081CC: D10000F8 00AA532D
	v_cndmask_b32_e64 v250, v45, v42, s[78:79]                 // 0000000081D4: D10000FA 013A552D
	v_cndmask_b32_e64 v249, v46, v43, s[42:43]                 // 0000000081DC: D10000F9 00AA572E
	v_cndmask_b32_e64 v251, v46, v44, s[78:79]                 // 0000000081E4: D10000FB 013A592E
	v_mov_b32_dpp v41, v73 row_shr:4 row_mask:0xf bank_mask:0xf// 0000000081EC: 7E5202FA FF011449
	v_mov_b32_dpp v42, v73 row_shl:4 row_mask:0xf bank_mask:0xf// 0000000081F4: 7E5402FA FF010449
	v_cndmask_b32_e64 v252, v73, v41, s[44:45]                 // 0000000081FC: D10000FC 00B25349
	v_cndmask_b32_e64 v253, v42, v73, s[44:45]                 // 000000008204: D10000FD 00B2932A
	v_mov_b32_dpp v41, v252 row_shr:8 row_mask:0xf bank_mask:0xf// 00000000820C: 7E5202FA FF0118FC
	v_mov_b32_dpp v42, v252 row_shl:8 row_mask:0xf bank_mask:0xf// 000000008214: 7E5402FA FF0108FC
	v_mov_b32_dpp v43, v253 row_shr:8 row_mask:0xf bank_mask:0xf// 00000000821C: 7E5602FA FF0118FD
	v_mov_b32_dpp v44, v253 row_shl:8 row_mask:0xf bank_mask:0xf// 000000008224: 7E5802FA FF0108FD
	v_mov_b32_e32 v45, v252                                    // 00000000822C: 7E5A03FC
	v_mov_b32_e32 v46, v253                                    // 000000008230: 7E5C03FD
	v_cndmask_b32_e64 v252, v45, v41, s[42:43]                 // 000000008234: D10000FC 00AA532D
	v_cndmask_b32_e64 v254, v45, v42, s[78:79]                 // 00000000823C: D10000FE 013A552D
	v_cndmask_b32_e64 v253, v46, v43, s[42:43]                 // 000000008244: D10000FD 00AA572E
	v_cndmask_b32_e64 v255, v46, v44, s[78:79]                 // 00000000824C: D10000FF 013A592E
	buffer_load_dword v72, v70, s[36:39], 0 offen              // 000000008254: E0501000 80094846
	v_mul_f32_e32 v128, v54, v128                              // 00000000825C: 0B010136
	v_mul_f32_e32 v129, v54, v129                              // 000000008260: 0B030336
	v_mul_f32_e32 v130, v54, v130                              // 000000008264: 0B050536
	v_mul_f32_e32 v131, v54, v131                              // 000000008268: 0B070736
	v_mul_f32_e32 v132, v54, v132                              // 00000000826C: 0B090936
	v_mul_f32_e32 v133, v54, v133                              // 000000008270: 0B0B0B36
	v_mul_f32_e32 v134, v54, v134                              // 000000008274: 0B0D0D36
	v_mul_f32_e32 v135, v54, v135                              // 000000008278: 0B0F0F36
	v_mul_f32_e32 v136, v54, v136                              // 00000000827C: 0B111136
	v_mul_f32_e32 v137, v54, v137                              // 000000008280: 0B131336
	v_mul_f32_e32 v138, v54, v138                              // 000000008284: 0B151536
	v_mul_f32_e32 v139, v54, v139                              // 000000008288: 0B171736
	v_mul_f32_e32 v140, v54, v140                              // 00000000828C: 0B191936
	v_mul_f32_e32 v141, v54, v141                              // 000000008290: 0B1B1B36
	v_mul_f32_e32 v142, v54, v142                              // 000000008294: 0B1D1D36
	v_mul_f32_e32 v143, v54, v143                              // 000000008298: 0B1F1F36
	buffer_load_dwordx4 a[16:19], v27, s[16:19], 0 offen       // 00000000829C: E05C1000 8084101B
	v_mul_f32_dpp v128, v248, v128 quad_perm:[0,0,0,0] row_mask:0xf bank_mask:0xf// 0000000082A4: 0B0100FA FF0000F8
	v_mul_f32_dpp v129, v248, v129 quad_perm:[1,1,1,1] row_mask:0xf bank_mask:0xf// 0000000082AC: 0B0302FA FF0055F8
	v_mul_f32_dpp v130, v248, v130 quad_perm:[2,2,2,2] row_mask:0xf bank_mask:0xf// 0000000082B4: 0B0504FA FF00AAF8
	v_mul_f32_dpp v131, v248, v131 quad_perm:[3,3,3,3] row_mask:0xf bank_mask:0xf// 0000000082BC: 0B0706FA FF00FFF8
	v_mul_f32_dpp v132, v249, v132 quad_perm:[0,0,0,0] row_mask:0xf bank_mask:0xf// 0000000082C4: 0B0908FA FF0000F9
	v_mul_f32_dpp v133, v249, v133 quad_perm:[1,1,1,1] row_mask:0xf bank_mask:0xf// 0000000082CC: 0B0B0AFA FF0055F9
	v_mul_f32_dpp v134, v249, v134 quad_perm:[2,2,2,2] row_mask:0xf bank_mask:0xf// 0000000082D4: 0B0D0CFA FF00AAF9
	v_mul_f32_dpp v135, v249, v135 quad_perm:[3,3,3,3] row_mask:0xf bank_mask:0xf// 0000000082DC: 0B0F0EFA FF00FFF9
	v_mul_f32_dpp v136, v250, v136 quad_perm:[0,0,0,0] row_mask:0xf bank_mask:0xf// 0000000082E4: 0B1110FA FF0000FA
	v_mul_f32_dpp v137, v250, v137 quad_perm:[1,1,1,1] row_mask:0xf bank_mask:0xf// 0000000082EC: 0B1312FA FF0055FA
	v_mul_f32_dpp v138, v250, v138 quad_perm:[2,2,2,2] row_mask:0xf bank_mask:0xf// 0000000082F4: 0B1514FA FF00AAFA
	v_mul_f32_dpp v139, v250, v139 quad_perm:[3,3,3,3] row_mask:0xf bank_mask:0xf// 0000000082FC: 0B1716FA FF00FFFA
	v_mul_f32_dpp v140, v251, v140 quad_perm:[0,0,0,0] row_mask:0xf bank_mask:0xf// 000000008304: 0B1918FA FF0000FB
	v_mul_f32_dpp v141, v251, v141 quad_perm:[1,1,1,1] row_mask:0xf bank_mask:0xf// 00000000830C: 0B1B1AFA FF0055FB
	v_mul_f32_dpp v142, v251, v142 quad_perm:[2,2,2,2] row_mask:0xf bank_mask:0xf// 000000008314: 0B1D1CFA FF00AAFB
	v_mul_f32_dpp v143, v251, v143 quad_perm:[3,3,3,3] row_mask:0xf bank_mask:0xf// 00000000831C: 0B1F1EFA FF00FFFB
	buffer_load_dwordx4 a[20:23], v27, s[16:19], 0 offen offset:1024// 000000008324: E05C1400 8084141B
	s_cmp_le_i32 s90, s89                                      // 00000000832C: BF05595A
	s_cbranch_scc1 label_18C0                                  // 000000008330: BF850073
	v_mov_b32_e32 v69, 0xff800000                              // 000000008334: 7E8A02FF FF800000
	s_mov_b32 s60, s90                                         // 00000000833C: BEBC005A
	s_add_u32 s61, s89, 0xff                                   // 000000008340: 803DFF59 000000FF
	v_mov_b32_e32 v41, s61                                     // 000000008348: 7E52023D
	v_lshrrev_b32_e32 v240, 4, v0                              // 00000000834C: 21E00084
	v_mul_i32_i24_e32 v240, 4, v240                            // 000000008350: 0DE1E084
	v_add_u32_e32 v240, s60, v240                              // 000000008354: 69E1E03C
	v_and_b32_e32 v42, 15, v0                                  // 000000008358: 2654008F
	v_lshrrev_b32_e32 v42, 3, v42                              // 00000000835C: 20545483
	s_mov_b32 s61, 0                                           // 000000008360: BEBD0080
	s_mul_i32 s60, 16, s7                                      // 000000008364: 923C0790
	v_add_u32_e32 v42, s61, v42                                // 000000008368: 6854543D
	v_sub_u32_e32 v240, v240, v42                              // 00000000836C: 6BE055F0
	v_add_u32_e32 v240, s60, v240                              // 000000008370: 69E1E03C
	v_add_u32_e32 v241, 1, v240                                // 000000008374: 69E3E081
	v_add_u32_e32 v242, 2, v240                                // 000000008378: 69E5E082
	v_add_u32_e32 v243, 3, v240                                // 00000000837C: 69E7E083
	v_cmp_le_u32_e64 s[40:41], v240, v41                       // 000000008380: D0CB0028 000253F0
	v_add_u32_e32 v240, 64, v240                               // 000000008388: 69E1E0C0
	s_nop 0                                                    // 00000000838C: BF800000
	v_cndmask_b32_e64 v128, v69, v128, s[40:41]                // 000000008390: D1000080 00A30145
	v_cmp_le_u32_e64 s[40:41], v241, v41                       // 000000008398: D0CB0028 000253F1
	v_add_u32_e32 v241, 64, v241                               // 0000000083A0: 69E3E2C0
	s_nop 0                                                    // 0000000083A4: BF800000
	v_cndmask_b32_e64 v129, v69, v129, s[40:41]                // 0000000083A8: D1000081 00A30345
	v_cmp_le_u32_e64 s[40:41], v242, v41                       // 0000000083B0: D0CB0028 000253F2
	v_add_u32_e32 v242, 64, v242                               // 0000000083B8: 69E5E4C0
	s_nop 0                                                    // 0000000083BC: BF800000
	v_cndmask_b32_e64 v130, v69, v130, s[40:41]                // 0000000083C0: D1000082 00A30545
	v_cmp_le_u32_e64 s[40:41], v243, v41                       // 0000000083C8: D0CB0028 000253F3
	v_add_u32_e32 v243, 64, v243                               // 0000000083D0: 69E7E6C0
	s_nop 0                                                    // 0000000083D4: BF800000
	v_cndmask_b32_e64 v131, v69, v131, s[40:41]                // 0000000083D8: D1000083 00A30745
	v_cmp_le_u32_e64 s[40:41], v240, v41                       // 0000000083E0: D0CB0028 000253F0
	v_add_u32_e32 v240, 64, v240                               // 0000000083E8: 69E1E0C0
	s_nop 0                                                    // 0000000083EC: BF800000
	v_cndmask_b32_e64 v132, v69, v132, s[40:41]                // 0000000083F0: D1000084 00A30945
	v_cmp_le_u32_e64 s[40:41], v241, v41                       // 0000000083F8: D0CB0028 000253F1
	v_add_u32_e32 v241, 64, v241                               // 000000008400: 69E3E2C0
	s_nop 0                                                    // 000000008404: BF800000
	v_cndmask_b32_e64 v133, v69, v133, s[40:41]                // 000000008408: D1000085 00A30B45
	v_cmp_le_u32_e64 s[40:41], v242, v41                       // 000000008410: D0CB0028 000253F2
	v_add_u32_e32 v242, 64, v242                               // 000000008418: 69E5E4C0
	s_nop 0                                                    // 00000000841C: BF800000
	v_cndmask_b32_e64 v134, v69, v134, s[40:41]                // 000000008420: D1000086 00A30D45
	v_cmp_le_u32_e64 s[40:41], v243, v41                       // 000000008428: D0CB0028 000253F3
	v_add_u32_e32 v243, 64, v243                               // 000000008430: 69E7E6C0
	s_nop 0                                                    // 000000008434: BF800000
	v_cndmask_b32_e64 v135, v69, v135, s[40:41]                // 000000008438: D1000087 00A30F45
	v_cmp_le_u32_e64 s[40:41], v240, v41                       // 000000008440: D0CB0028 000253F0
	v_add_u32_e32 v240, 64, v240                               // 000000008448: 69E1E0C0
	s_nop 0                                                    // 00000000844C: BF800000
	v_cndmask_b32_e64 v136, v69, v136, s[40:41]                // 000000008450: D1000088 00A31145
	v_cmp_le_u32_e64 s[40:41], v241, v41                       // 000000008458: D0CB0028 000253F1
	v_add_u32_e32 v241, 64, v241                               // 000000008460: 69E3E2C0
	s_nop 0                                                    // 000000008464: BF800000
	v_cndmask_b32_e64 v137, v69, v137, s[40:41]                // 000000008468: D1000089 00A31345
	v_cmp_le_u32_e64 s[40:41], v242, v41                       // 000000008470: D0CB0028 000253F2
	v_add_u32_e32 v242, 64, v242                               // 000000008478: 69E5E4C0
	s_nop 0                                                    // 00000000847C: BF800000
	v_cndmask_b32_e64 v138, v69, v138, s[40:41]                // 000000008480: D100008A 00A31545
	v_cmp_le_u32_e64 s[40:41], v243, v41                       // 000000008488: D0CB0028 000253F3
	v_add_u32_e32 v243, 64, v243                               // 000000008490: 69E7E6C0
	s_nop 0                                                    // 000000008494: BF800000
	v_cndmask_b32_e64 v139, v69, v139, s[40:41]                // 000000008498: D100008B 00A31745
	v_cmp_le_u32_e64 s[40:41], v240, v41                       // 0000000084A0: D0CB0028 000253F0
	v_add_u32_e32 v240, 64, v240                               // 0000000084A8: 69E1E0C0
	s_nop 0                                                    // 0000000084AC: BF800000
	v_cndmask_b32_e64 v140, v69, v140, s[40:41]                // 0000000084B0: D100008C 00A31945
	v_cmp_le_u32_e64 s[40:41], v241, v41                       // 0000000084B8: D0CB0028 000253F1
	v_add_u32_e32 v241, 64, v241                               // 0000000084C0: 69E3E2C0
	s_nop 0                                                    // 0000000084C4: BF800000
	v_cndmask_b32_e64 v141, v69, v141, s[40:41]                // 0000000084C8: D100008D 00A31B45
	v_cmp_le_u32_e64 s[40:41], v242, v41                       // 0000000084D0: D0CB0028 000253F2
	v_add_u32_e32 v242, 64, v242                               // 0000000084D8: 69E5E4C0
	s_nop 0                                                    // 0000000084DC: BF800000
	v_cndmask_b32_e64 v142, v69, v142, s[40:41]                // 0000000084E0: D100008E 00A31D45
	v_cmp_le_u32_e64 s[40:41], v243, v41                       // 0000000084E8: D0CB0028 000253F3
	v_add_u32_e32 v243, 64, v243                               // 0000000084F0: 69E7E6C0
	s_nop 0                                                    // 0000000084F4: BF800000
	v_cndmask_b32_e64 v143, v69, v143, s[40:41]                // 0000000084F8: D100008F 00A31F45

0000000000008500 <label_18C0>:
	s_add_u32 s90, s91, s90                                    // 000000008500: 805A5A5B
	v_mov_b32_e32 v62, v128                                    // 000000008504: 7E7C0380
	v_max3_f32 v62, v128, v129, v62                            // 000000008508: D1D3003E 04FB0380
	v_max3_f32 v62, v130, v131, v62                            // 000000008510: D1D3003E 04FB0782
	v_max3_f32 v62, v132, v133, v62                            // 000000008518: D1D3003E 04FB0B84
	v_max3_f32 v62, v134, v135, v62                            // 000000008520: D1D3003E 04FB0F86
	v_max3_f32 v62, v136, v137, v62                            // 000000008528: D1D3003E 04FB1388
	v_max3_f32 v62, v138, v139, v62                            // 000000008530: D1D3003E 04FB178A
	v_max3_f32 v62, v140, v141, v62                            // 000000008538: D1D3003E 04FB1B8C
	v_max3_f32 v62, v142, v143, v62                            // 000000008540: D1D3003E 04FB1F8E
	ds_write_b32 v11, v62 offset:16896                         // 000000008548: D81A4200 00003E0B
	buffer_load_dwordx4 a[24:27], v28, s[16:19], 0 offen       // 000000008550: E05C1000 8084181C
	v_mul_u32_u24_dpp v41, v19, v68 row_newbcast:1 row_mask:0xf bank_mask:0xf// 000000008558: 105288FA FF015113
	v_mul_u32_u24_dpp v42, v19, v68 row_newbcast:5 row_mask:0xf bank_mask:0xf// 000000008560: 105488FA FF015513
	v_mul_u32_u24_dpp v43, v19, v68 row_newbcast:9 row_mask:0xf bank_mask:0xf// 000000008568: 105688FA FF015913
	v_mul_u32_u24_dpp v44, v19, v68 row_newbcast:13 row_mask:0xf bank_mask:0xf// 000000008570: 105888FA FF015D13
	v_add_u32_e32 v33, v41, v7                                 // 000000008578: 68420F29
	v_add_u32_e32 v34, v42, v7                                 // 00000000857C: 68440F2A
	v_add_u32_e32 v35, v43, v7                                 // 000000008580: 68460F2B
	v_add_u32_e32 v36, v44, v7                                 // 000000008584: 68480F2C
	v_mul_f32_e32 v224, v63, v224                              // 000000008588: 0BC1C13F
	v_mul_f32_e32 v225, v63, v225                              // 00000000858C: 0BC3C33F
	v_mul_f32_e32 v226, v63, v226                              // 000000008590: 0BC5C53F
	v_mul_f32_e32 v227, v63, v227                              // 000000008594: 0BC7C73F
	v_mul_f32_e32 v228, v63, v228                              // 000000008598: 0BC9C93F
	v_mul_f32_e32 v229, v63, v229                              // 00000000859C: 0BCBCB3F
	v_mul_f32_e32 v230, v63, v230                              // 0000000085A0: 0BCDCD3F
	v_mul_f32_e32 v231, v63, v231                              // 0000000085A4: 0BCFCF3F
	s_waitcnt lgkmcnt(0)                                       // 0000000085A8: BF8CC07F
	s_barrier                                                  // 0000000085AC: BF8A0000
	ds_read_b32 v80, v10 offset:16896                          // 0000000085B0: D86C4200 5000000A
	ds_read_b32 v81, v10 offset:16960                          // 0000000085B8: D86C4240 5100000A
	ds_read_b32 v82, v10 offset:17024                          // 0000000085C0: D86C4280 5200000A
	ds_read_b32 v83, v10 offset:17088                          // 0000000085C8: D86C42C0 5300000A
	ds_read_b32 v84, v10 offset:17152                          // 0000000085D0: D86C4300 5400000A
	ds_read_b32 v85, v10 offset:17216                          // 0000000085D8: D86C4340 5500000A
	ds_read_b32 v86, v10 offset:17280                          // 0000000085E0: D86C4380 5600000A
	ds_read_b32 v87, v10 offset:17344                          // 0000000085E8: D86C43C0 5700000A
	ds_read_b32 v88, v10 offset:17408                          // 0000000085F0: D86C4400 5800000A
	ds_read_b32 v89, v10 offset:17472                          // 0000000085F8: D86C4440 5900000A
	ds_read_b32 v90, v10 offset:17536                          // 000000008600: D86C4480 5A00000A
	ds_read_b32 v91, v10 offset:17600                          // 000000008608: D86C44C0 5B00000A
	ds_read_b32 v92, v10 offset:17664                          // 000000008610: D86C4500 5C00000A
	ds_read_b32 v93, v10 offset:17728                          // 000000008618: D86C4540 5D00000A
	ds_read_b32 v94, v10 offset:17792                          // 000000008620: D86C4580 5E00000A
	ds_read_b32 v95, v10 offset:17856                          // 000000008628: D86C45C0 5F00000A
	buffer_load_dwordx4 a[28:31], v28, s[16:19], 0 offen offset:1024// 000000008630: E05C1400 80841C1C
	v_mul_f32_e32 v192, v58, v192                              // 000000008638: 0B81813A
	v_mul_f32_e32 v193, v58, v193                              // 00000000863C: 0B83833A
	v_mul_f32_e32 v194, v58, v194                              // 000000008640: 0B85853A
	v_mul_f32_e32 v195, v58, v195                              // 000000008644: 0B87873A
	v_mul_f32_e32 v196, v58, v196                              // 000000008648: 0B89893A
	v_mul_f32_e32 v197, v58, v197                              // 00000000864C: 0B8B8B3A
	v_mul_f32_e32 v198, v58, v198                              // 000000008650: 0B8D8D3A
	v_mul_f32_e32 v199, v58, v199                              // 000000008654: 0B8F8F3A
	s_waitcnt lgkmcnt(0)                                       // 000000008658: BF8CC07F
	v_max3_f32 v62, v80, v81, v62                              // 00000000865C: D1D3003E 04FAA350
	v_max3_f32 v62, v82, v83, v62                              // 000000008664: D1D3003E 04FAA752
	v_max3_f32 v62, v84, v85, v62                              // 00000000866C: D1D3003E 04FAAB54
	v_max3_f32 v62, v86, v87, v62                              // 000000008674: D1D3003E 04FAAF56
	v_max3_f32 v62, v88, v89, v62                              // 00000000867C: D1D3003E 04FAB358
	v_max3_f32 v62, v90, v91, v62                              // 000000008684: D1D3003E 04FAB75A
	v_max3_f32 v62, v92, v93, v62                              // 00000000868C: D1D3003E 04FABB5C
	v_max3_f32 v62, v94, v95, v62                              // 000000008694: D1D3003E 04FABF5E
	buffer_load_dwordx4 a[64:67], v33, s[20:23], 0 offen       // 00000000869C: E05C1000 80854021
	v_mov_b32_e32 v41, 0xff800000                              // 0000000086A4: 7E5202FF FF800000
	v_cmp_eq_u32_e64 s[40:41], v41, v14                        // 0000000086AC: D0CA0028 00021D29
	s_nop 1                                                    // 0000000086B4: BF800001
	v_max_f32_e32 v18, v62, v14                                // 0000000086B8: 16241D3E
	v_mul_f32_e32 v67, s64, v18                                // 0000000086BC: 0A862440
	v_fma_f32 v128, v128, s64, -v67                            // 0000000086C0: D1CB0080 850C8180
	v_fma_f32 v129, v129, s64, -v67                            // 0000000086C8: D1CB0081 850C8181
	v_fma_f32 v130, v130, s64, -v67                            // 0000000086D0: D1CB0082 850C8182
	v_fma_f32 v131, v131, s64, -v67                            // 0000000086D8: D1CB0083 850C8183
	v_fma_f32 v132, v132, s64, -v67                            // 0000000086E0: D1CB0084 850C8184
	v_fma_f32 v133, v133, s64, -v67                            // 0000000086E8: D1CB0085 850C8185
	v_fma_f32 v134, v134, s64, -v67                            // 0000000086F0: D1CB0086 850C8186
	v_fma_f32 v135, v135, s64, -v67                            // 0000000086F8: D1CB0087 850C8187
	v_fma_f32 v136, v136, s64, -v67                            // 000000008700: D1CB0088 850C8188
	v_fma_f32 v137, v137, s64, -v67                            // 000000008708: D1CB0089 850C8189
	v_fma_f32 v138, v138, s64, -v67                            // 000000008710: D1CB008A 850C818A
	v_fma_f32 v139, v139, s64, -v67                            // 000000008718: D1CB008B 850C818B
	v_fma_f32 v140, v140, s64, -v67                            // 000000008720: D1CB008C 850C818C
	v_fma_f32 v141, v141, s64, -v67                            // 000000008728: D1CB008D 850C818D
	v_fma_f32 v142, v142, s64, -v67                            // 000000008730: D1CB008E 850C818E
	v_fma_f32 v143, v143, s64, -v67                            // 000000008738: D1CB008F 850C818F
	buffer_load_dwordx4 a[68:71], v34, s[20:23], 0 offen       // 000000008740: E05C1000 80854422
	v_exp_f32_e32 v128, v128                                   // 000000008748: 7F004180
	v_exp_f32_e32 v129, v129                                   // 00000000874C: 7F024181
	v_exp_f32_e32 v130, v130                                   // 000000008750: 7F044182
	v_exp_f32_e32 v131, v131                                   // 000000008754: 7F064183
	v_exp_f32_e32 v132, v132                                   // 000000008758: 7F084184
	v_exp_f32_e32 v133, v133                                   // 00000000875C: 7F0A4185
	v_exp_f32_e32 v134, v134                                   // 000000008760: 7F0C4186
	v_exp_f32_e32 v135, v135                                   // 000000008764: 7F0E4187
	v_exp_f32_e32 v136, v136                                   // 000000008768: 7F104188
	v_exp_f32_e32 v137, v137                                   // 00000000876C: 7F124189
	v_exp_f32_e32 v138, v138                                   // 000000008770: 7F14418A
	v_exp_f32_e32 v139, v139                                   // 000000008774: 7F16418B
	v_exp_f32_e32 v140, v140                                   // 000000008778: 7F18418C
	v_exp_f32_e32 v141, v141                                   // 00000000877C: 7F1A418D
	v_exp_f32_e32 v142, v142                                   // 000000008780: 7F1C418E
	v_exp_f32_e32 v143, v143                                   // 000000008784: 7F1E418F
	buffer_load_dwordx4 a[72:75], v35, s[20:23], 0 offen       // 000000008788: E05C1000 80854823
	v_mul_f32_dpp v240, v252, v128 quad_perm:[0,0,0,0] row_mask:0xf bank_mask:0xf// 000000008790: 0BE100FA FF0000FC
	v_mul_f32_dpp v241, v252, v129 quad_perm:[1,1,1,1] row_mask:0xf bank_mask:0xf// 000000008798: 0BE302FA FF0055FC
	v_mul_f32_dpp v242, v252, v130 quad_perm:[2,2,2,2] row_mask:0xf bank_mask:0xf// 0000000087A0: 0BE504FA FF00AAFC
	v_mul_f32_dpp v243, v252, v131 quad_perm:[3,3,3,3] row_mask:0xf bank_mask:0xf// 0000000087A8: 0BE706FA FF00FFFC
	v_mul_f32_dpp v244, v253, v132 quad_perm:[0,0,0,0] row_mask:0xf bank_mask:0xf// 0000000087B0: 0BE908FA FF0000FD
	v_mul_f32_dpp v245, v253, v133 quad_perm:[1,1,1,1] row_mask:0xf bank_mask:0xf// 0000000087B8: 0BEB0AFA FF0055FD
	v_mul_f32_dpp v246, v253, v134 quad_perm:[2,2,2,2] row_mask:0xf bank_mask:0xf// 0000000087C0: 0BED0CFA FF00AAFD
	v_mul_f32_dpp v247, v253, v135 quad_perm:[3,3,3,3] row_mask:0xf bank_mask:0xf// 0000000087C8: 0BEF0EFA FF00FFFD
	v_mul_f32_dpp v248, v254, v136 quad_perm:[0,0,0,0] row_mask:0xf bank_mask:0xf// 0000000087D0: 0BF110FA FF0000FE
	v_mul_f32_dpp v249, v254, v137 quad_perm:[1,1,1,1] row_mask:0xf bank_mask:0xf// 0000000087D8: 0BF312FA FF0055FE
	v_mul_f32_dpp v250, v254, v138 quad_perm:[2,2,2,2] row_mask:0xf bank_mask:0xf// 0000000087E0: 0BF514FA FF00AAFE
	v_mul_f32_dpp v251, v254, v139 quad_perm:[3,3,3,3] row_mask:0xf bank_mask:0xf// 0000000087E8: 0BF716FA FF00FFFE
	v_mul_f32_dpp v252, v255, v140 quad_perm:[0,0,0,0] row_mask:0xf bank_mask:0xf// 0000000087F0: 0BF918FA FF0000FF
	v_mul_f32_dpp v253, v255, v141 quad_perm:[1,1,1,1] row_mask:0xf bank_mask:0xf// 0000000087F8: 0BFB1AFA FF0055FF
	v_mul_f32_dpp v254, v255, v142 quad_perm:[2,2,2,2] row_mask:0xf bank_mask:0xf// 000000008800: 0BFD1CFA FF00AAFF
	v_mul_f32_dpp v255, v255, v143 quad_perm:[3,3,3,3] row_mask:0xf bank_mask:0xf// 000000008808: 0BFF1EFA FF00FFFF
	v_mov_b32_e32 v62, 0x358637bd                              // 000000008810: 7E7C02FF 358637BD
	v_max3_f32 v62, |v240|, |v241|, v62                        // 000000008818: D1D3033E 04FBE3F0
	v_max3_f32 v62, |v242|, |v243|, v62                        // 000000008820: D1D3033E 04FBE7F2
	v_max3_f32 v62, |v244|, |v245|, v62                        // 000000008828: D1D3033E 04FBEBF4
	v_max3_f32 v62, |v246|, |v247|, v62                        // 000000008830: D1D3033E 04FBEFF6
	v_max3_f32 v62, |v248|, |v249|, v62                        // 000000008838: D1D3033E 04FBF3F8
	v_max3_f32 v62, |v250|, |v251|, v62                        // 000000008840: D1D3033E 04FBF7FA
	v_max3_f32 v62, |v252|, |v253|, v62                        // 000000008848: D1D3033E 04FBFBFC
	v_max3_f32 v62, |v254|, |v255|, v62                        // 000000008850: D1D3033E 04FBFFFE
	buffer_load_dwordx4 a[76:79], v36, s[20:23], 0 offen       // 000000008858: E05C1000 80854C24
	ds_write_b32 v11, v62 offset:20992                         // 000000008860: D81A5200 00003E0B
	v_sub_f32_e32 v63, v14, v18                                // 000000008868: 047E250E
	v_cndmask_b32_e64 v63, v63, 0, s[40:41]                    // 00000000886C: D100003F 00A1013F
	v_mov_b32_e32 v14, v18                                     // 000000008874: 7E1C0312
	v_mul_f32_e32 v63, s64, v63                                // 000000008878: 0A7E7E40
	v_exp_f32_e32 v63, v63                                     // 00000000887C: 7E7E413F
	s_waitcnt lgkmcnt(0)                                       // 000000008880: BF8CC07F
	s_barrier                                                  // 000000008884: BF8A0000
	ds_read_b32 v80, v10 offset:20992                          // 000000008888: D86C5200 5000000A
	ds_read_b32 v81, v10 offset:21056                          // 000000008890: D86C5240 5100000A
	ds_read_b32 v82, v10 offset:21120                          // 000000008898: D86C5280 5200000A
	ds_read_b32 v83, v10 offset:21184                          // 0000000088A0: D86C52C0 5300000A
	ds_read_b32 v84, v10 offset:21248                          // 0000000088A8: D86C5300 5400000A
	ds_read_b32 v85, v10 offset:21312                          // 0000000088B0: D86C5340 5500000A
	ds_read_b32 v86, v10 offset:21376                          // 0000000088B8: D86C5380 5600000A
	ds_read_b32 v87, v10 offset:21440                          // 0000000088C0: D86C53C0 5700000A
	ds_read_b32 v88, v10 offset:21504                          // 0000000088C8: D86C5400 5800000A
	ds_read_b32 v89, v10 offset:21568                          // 0000000088D0: D86C5440 5900000A
	ds_read_b32 v90, v10 offset:21632                          // 0000000088D8: D86C5480 5A00000A
	ds_read_b32 v91, v10 offset:21696                          // 0000000088E0: D86C54C0 5B00000A
	ds_read_b32 v92, v10 offset:21760                          // 0000000088E8: D86C5500 5C00000A
	ds_read_b32 v93, v10 offset:21824                          // 0000000088F0: D86C5540 5D00000A
	ds_read_b32 v94, v10 offset:21888                          // 0000000088F8: D86C5580 5E00000A
	ds_read_b32 v95, v10 offset:21952                          // 000000008900: D86C55C0 5F00000A
	v_mul_f32_e32 v47, v63, v47                                // 000000008908: 0A5E5F3F
	v_mov_b32_e32 v18, v128                                    // 00000000890C: 7E240380
	v_add_f32_e32 v18, v129, v18                               // 000000008910: 02242581
	v_add_f32_e32 v18, v130, v18                               // 000000008914: 02242582
	;; [unrolled: 1-line block ×3, first 2 shown]
	v_add_f32_e32 v18, v132, v18                               // 00000000891C: 02242584
	v_add_f32_e32 v18, v133, v18                               // 000000008920: 02242585
	v_add_f32_e32 v18, v134, v18                               // 000000008924: 02242586
	;; [unrolled: 1-line block ×3, first 2 shown]
	v_add_f32_e32 v18, v136, v18                               // 00000000892C: 02242588
	v_add_f32_e32 v18, v137, v18                               // 000000008930: 02242589
	v_add_f32_e32 v18, v138, v18                               // 000000008934: 0224258A
	v_add_f32_e32 v18, v139, v18                               // 000000008938: 0224258B
	v_add_f32_e32 v18, v140, v18                               // 00000000893C: 0224258C
	v_add_f32_e32 v18, v141, v18                               // 000000008940: 0224258D
	v_add_f32_e32 v18, v142, v18                               // 000000008944: 0224258E
	v_add_f32_e32 v18, v143, v18                               // 000000008948: 0224258F
	v_add_f32_e32 v47, v18, v47                                // 00000000894C: 025E5F12
	s_waitcnt lgkmcnt(0)                                       // 000000008950: BF8CC07F
	v_max3_f32 v62, |v80|, |v81|, v62                          // 000000008954: D1D3033E 04FAA350
	v_max3_f32 v62, |v82|, |v83|, v62                          // 00000000895C: D1D3033E 04FAA752
	v_max3_f32 v62, |v84|, |v85|, v62                          // 000000008964: D1D3033E 04FAAB54
	v_max3_f32 v62, |v86|, |v87|, v62                          // 00000000896C: D1D3033E 04FAAF56
	v_max3_f32 v62, |v88|, |v89|, v62                          // 000000008974: D1D3033E 04FAB358
	v_max3_f32 v62, |v90|, |v91|, v62                          // 00000000897C: D1D3033E 04FAB75A
	v_max3_f32 v62, |v92|, |v93|, v62                          // 000000008984: D1D3033E 04FABB5C
	v_max3_f32 v62, |v94|, |v95|, v62                          // 00000000898C: D1D3033E 04FABF5E
	s_nop 2                                                    // 000000008994: BF800002
	v_rcp_f32_e32 v62, v62                                     // 000000008998: 7E7C453E
	s_nop 1                                                    // 00000000899C: BF800001
	v_mul_f32_e32 v62, 0x43e00000, v62                         // 0000000089A0: 0A7C7CFF 43E00000
	v_mul_f32_e32 v128, v62, v240                              // 0000000089A8: 0B01E13E
	v_mul_f32_e32 v129, v62, v241                              // 0000000089AC: 0B03E33E
	v_mul_f32_e32 v130, v62, v242                              // 0000000089B0: 0B05E53E
	v_mul_f32_e32 v131, v62, v243                              // 0000000089B4: 0B07E73E
	v_mul_f32_e32 v132, v62, v244                              // 0000000089B8: 0B09E93E
	v_mul_f32_e32 v133, v62, v245                              // 0000000089BC: 0B0BEB3E
	v_mul_f32_e32 v134, v62, v246                              // 0000000089C0: 0B0DED3E
	v_mul_f32_e32 v135, v62, v247                              // 0000000089C4: 0B0FEF3E
	v_mul_f32_e32 v136, v62, v248                              // 0000000089C8: 0B11F13E
	v_mul_f32_e32 v137, v62, v249                              // 0000000089CC: 0B13F33E
	v_mul_f32_e32 v138, v62, v250                              // 0000000089D0: 0B15F53E
	v_mul_f32_e32 v139, v62, v251                              // 0000000089D4: 0B17F73E
	v_mul_f32_e32 v140, v62, v252                              // 0000000089D8: 0B19F93E
	v_mul_f32_e32 v141, v62, v253                              // 0000000089DC: 0B1BFB3E
	v_mul_f32_e32 v142, v62, v254                              // 0000000089E0: 0B1DFD3E
	v_mul_f32_e32 v143, v62, v255                              // 0000000089E4: 0B1FFF3E
	v_cvt_pk_fp8_f32 v128, v128, v129                          // 0000000089E8: D2A20080 00030380
	v_cvt_pk_fp8_f32 v128, v130, v131 op_sel:[0,0,1]           // 0000000089F0: D2A24080 00030782
	v_cvt_pk_fp8_f32 v129, v132, v133                          // 0000000089F8: D2A20081 00030B84
	v_cvt_pk_fp8_f32 v129, v134, v135 op_sel:[0,0,1]           // 000000008A00: D2A24081 00030F86
	v_cvt_pk_fp8_f32 v130, v136, v137                          // 000000008A08: D2A20082 00031388
	v_cvt_pk_fp8_f32 v130, v138, v139 op_sel:[0,0,1]           // 000000008A10: D2A24082 0003178A
	v_cvt_pk_fp8_f32 v131, v140, v141                          // 000000008A18: D2A20083 00031B8C
	v_cvt_pk_fp8_f32 v131, v142, v143 op_sel:[0,0,1]           // 000000008A20: D2A24083 00031F8E
	ds_write_b32 v13, v128 offset:25088                        // 000000008A28: D81A6200 0000800D
	ds_write_b32 v13, v129 offset:26112                        // 000000008A30: D81A6600 0000810D
	ds_write_b32 v13, v130 offset:27136                        // 000000008A38: D81A6A00 0000820D
	ds_write_b32 v13, v131 offset:28160                        // 000000008A40: D81A6E00 0000830D
	v_add_f32_e32 v224, v224, v192                             // 000000008A48: 03C181E0
	v_add_f32_e32 v225, v225, v193                             // 000000008A4C: 03C383E1
	v_add_f32_e32 v226, v226, v194                             // 000000008A50: 03C585E2
	v_add_f32_e32 v227, v227, v195                             // 000000008A54: 03C787E3
	v_add_f32_e32 v228, v228, v196                             // 000000008A58: 03C989E4
	v_add_f32_e32 v229, v229, v197                             // 000000008A5C: 03CB8BE5
	v_add_f32_e32 v230, v230, v198                             // 000000008A60: 03CD8DE6
	v_add_f32_e32 v231, v231, v199                             // 000000008A64: 03CF8FE7
	v_rcp_f32_e32 v58, v62                                     // 000000008A68: 7E74453E
	s_waitcnt lgkmcnt(0)                                       // 000000008A6C: BF8CC07F
	s_barrier                                                  // 000000008A70: BF8A0000
	ds_read_b64 v[128:129], v12 offset:25088                   // 000000008A74: D8EC6200 8000000C
	ds_read_b64 v[130:131], v12 offset:25216                   // 000000008A7C: D8EC6280 8200000C
	ds_read_b64 v[132:133], v12 offset:26112                   // 000000008A84: D8EC6600 8400000C
	ds_read_b64 v[134:135], v12 offset:26240                   // 000000008A8C: D8EC6680 8600000C
	ds_read_b64 v[136:137], v12 offset:27136                   // 000000008A94: D8EC6A00 8800000C
	ds_read_b64 v[138:139], v12 offset:27264                   // 000000008A9C: D8EC6A80 8A00000C
	ds_read_b64 v[140:141], v12 offset:28160                   // 000000008AA4: D8EC6E00 8C00000C
	ds_read_b64 v[142:143], v12 offset:28288                   // 000000008AAC: D8EC6E80 8E00000C
	s_waitcnt vmcnt(15)                                        // 000000008AB4: BF8C0F7F
	s_waitcnt lgkmcnt(7)                                       // 000000008AB8: BF8CC77F
	v_mfma_f32_16x16x32_fp8_fp8 v[192:195], a[96:97], v[128:129], 0// 000000008ABC: D3F300C0 0A030160
	buffer_load_dwordx4 a[80:83], v33, s[20:23], 0 offen offset:1024// 000000008AC4: E05C1400 80855021
	s_waitcnt lgkmcnt(6)                                       // 000000008ACC: BF8CC67F
	v_mfma_f32_16x16x32_fp8_fp8 v[192:195], a[98:99], v[130:131], v[192:195]// 000000008AD0: D3F300C0 0F030562
	s_waitcnt lgkmcnt(5)                                       // 000000008AD8: BF8CC57F
	v_mfma_f32_16x16x32_fp8_fp8 v[192:195], a[100:101], v[132:133], v[192:195]// 000000008ADC: D3F300C0 0F030964
	s_waitcnt lgkmcnt(4)                                       // 000000008AE4: BF8CC47F
	v_mfma_f32_16x16x32_fp8_fp8 v[192:195], a[102:103], v[134:135], v[192:195]// 000000008AE8: D3F300C0 0F030D66
	s_waitcnt lgkmcnt(3)                                       // 000000008AF0: BF8CC37F
	v_mfma_f32_16x16x32_fp8_fp8 v[192:195], a[104:105], v[136:137], v[192:195]// 000000008AF4: D3F300C0 0F031168
	buffer_load_dwordx4 a[84:87], v34, s[20:23], 0 offen offset:1024// 000000008AFC: E05C1400 80855422
	s_waitcnt lgkmcnt(2)                                       // 000000008B04: BF8CC27F
	v_mfma_f32_16x16x32_fp8_fp8 v[192:195], a[106:107], v[138:139], v[192:195]// 000000008B08: D3F300C0 0F03156A
	s_waitcnt lgkmcnt(1)                                       // 000000008B10: BF8CC17F
	v_mfma_f32_16x16x32_fp8_fp8 v[192:195], a[108:109], v[140:141], v[192:195]// 000000008B14: D3F300C0 0F03196C
	s_waitcnt lgkmcnt(0)                                       // 000000008B1C: BF8CC07F
	v_mfma_f32_16x16x32_fp8_fp8 v[192:195], a[110:111], v[142:143], v[192:195]// 000000008B20: D3F300C0 0F031D6E
	v_mfma_f32_16x16x32_fp8_fp8 v[196:199], a[112:113], v[128:129], 0// 000000008B28: D3F300C4 0A030170
	buffer_load_dwordx4 a[88:91], v35, s[20:23], 0 offen offset:1024// 000000008B30: E05C1400 80855823
	v_mfma_f32_16x16x32_fp8_fp8 v[196:199], a[114:115], v[130:131], v[196:199]// 000000008B38: D3F300C4 0F130572
	v_mfma_f32_16x16x32_fp8_fp8 v[196:199], a[116:117], v[132:133], v[196:199]// 000000008B40: D3F300C4 0F130974
	v_mfma_f32_16x16x32_fp8_fp8 v[196:199], a[118:119], v[134:135], v[196:199]// 000000008B48: D3F300C4 0F130D76
	v_mfma_f32_16x16x32_fp8_fp8 v[196:199], a[120:121], v[136:137], v[196:199]// 000000008B50: D3F300C4 0F131178
	buffer_load_dwordx4 a[92:95], v36, s[20:23], 0 offen offset:1024// 000000008B58: E05C1400 80855C24
	v_mfma_f32_16x16x32_fp8_fp8 v[196:199], a[122:123], v[138:139], v[196:199]// 000000008B60: D3F300C4 0F13157A
	v_mfma_f32_16x16x32_fp8_fp8 v[196:199], a[124:125], v[140:141], v[196:199]// 000000008B68: D3F300C4 0F13197C
	s_lshr_b32 s57, s70, 4                                     // 000000008B70: 8F398446
	s_add_u32 s57, 48, s57                                     // 000000008B74: 803939B0
	v_mfma_f32_16x16x32_fp8_fp8 v[196:199], a[126:127], v[142:143], v[196:199]// 000000008B78: D3F300C4 0F131D7E
	s_cmp_ge_u32 s57, s73                                      // 000000008B80: BF094939
	s_cselect_b32 s56, 0, s56                                  // 000000008B84: 85383880
	v_add_u32_e32 v1, s56, v1                                  // 000000008B88: 68020238
	s_addk_i32 s70, 0x100                                      // 000000008B8C: B7460100
	s_cmp_lt_i32 s70, s71                                      // 000000008B90: BF044746
	s_cbranch_scc0 label_14DB                                  // 000000008B94: BF84FA75
	s_branch label_14DE                                        // 000000008B98: BF82FA77

0000000000008b9c <label_1A67>:
	s_lshr_b32 s60, s71, 4                                     // 000000008B9C: 8F3C8447
	s_cmp_eq_i32 s60, s73                                      // 000000008BA0: BF00493C
	s_cbranch_scc1 label_2056                                  // 000000008BA4: BF8505EC
	s_lshr_b32 s60, s71, 8                                     // 000000008BA8: 8F3C8847
	s_and_b32 s60, s60, 1                                      // 000000008BAC: 863C813C
	s_cmp_eq_i32 s60, 1                                        // 000000008BB0: BF00813C
	s_cbranch_scc1 label_1D62                                  // 000000008BB4: BF8502F4
	s_waitcnt vmcnt(8) lgkmcnt(0)                              // 000000008BB8: BF8C0078
	s_barrier                                                  // 000000008BBC: BF8A0000
	v_mfma_f32_16x16x32_fp8_fp8 v[128:131], a[0:1], v[96:97], 0// 000000008BC0: D3F30080 0A02C100
	v_mfma_f32_16x16x32_fp8_fp8 v[128:131], a[2:3], v[98:99], v[128:131]// 000000008BC8: D3F30080 0E02C502
	v_mfma_f32_16x16x32_fp8_fp8 v[128:131], a[4:5], v[100:101], v[128:131]// 000000008BD0: D3F30080 0E02C904
	v_mfma_f32_16x16x32_fp8_fp8 v[128:131], a[6:7], v[102:103], v[128:131]// 000000008BD8: D3F30080 0E02CD06
	v_mfma_f32_16x16x32_fp8_fp8 v[132:135], a[8:9], v[96:97], 0// 000000008BE0: D3F30084 0A02C108
	v_mfma_f32_16x16x32_fp8_fp8 v[132:135], a[10:11], v[98:99], v[132:135]// 000000008BE8: D3F30084 0E12C50A
	v_mfma_f32_16x16x32_fp8_fp8 v[132:135], a[12:13], v[100:101], v[132:135]// 000000008BF0: D3F30084 0E12C90C
	v_mfma_f32_16x16x32_fp8_fp8 v[132:135], a[14:15], v[102:103], v[132:135]// 000000008BF8: D3F30084 0E12CD0E
	v_mfma_f32_16x16x32_fp8_fp8 v[136:139], a[16:17], v[96:97], 0// 000000008C00: D3F30088 0A02C110
	v_mfma_f32_16x16x32_fp8_fp8 v[136:139], a[18:19], v[98:99], v[136:139]// 000000008C08: D3F30088 0E22C512
	v_mfma_f32_16x16x32_fp8_fp8 v[136:139], a[20:21], v[100:101], v[136:139]// 000000008C10: D3F30088 0E22C914
	v_mfma_f32_16x16x32_fp8_fp8 v[136:139], a[22:23], v[102:103], v[136:139]// 000000008C18: D3F30088 0E22CD16
	v_mfma_f32_16x16x32_fp8_fp8 v[140:143], a[24:25], v[96:97], 0// 000000008C20: D3F3008C 0A02C118
	v_mfma_f32_16x16x32_fp8_fp8 v[140:143], a[26:27], v[98:99], v[140:143]// 000000008C28: D3F3008C 0E32C51A
	v_mfma_f32_16x16x32_fp8_fp8 v[140:143], a[28:29], v[100:101], v[140:143]// 000000008C30: D3F3008C 0E32C91C
	v_mfma_f32_16x16x32_fp8_fp8 v[140:143], a[30:31], v[102:103], v[140:143]// 000000008C38: D3F3008C 0E32CD1E
	v_mov_b32_dpp v41, v52 row_shr:4 row_mask:0xf bank_mask:0xf// 000000008C40: 7E5202FA FF011434
	v_mov_b32_dpp v42, v52 row_shl:4 row_mask:0xf bank_mask:0xf// 000000008C48: 7E5402FA FF010434
	v_cndmask_b32_e64 v248, v52, v41, s[44:45]                 // 000000008C50: D10000F8 00B25334
	v_cndmask_b32_e64 v249, v42, v52, s[44:45]                 // 000000008C58: D10000F9 00B2692A
	v_mov_b32_dpp v41, v248 row_shr:8 row_mask:0xf bank_mask:0xf// 000000008C60: 7E5202FA FF0118F8
	v_mov_b32_dpp v42, v248 row_shl:8 row_mask:0xf bank_mask:0xf// 000000008C68: 7E5402FA FF0108F8
	v_mov_b32_dpp v43, v249 row_shr:8 row_mask:0xf bank_mask:0xf// 000000008C70: 7E5602FA FF0118F9
	v_mov_b32_dpp v44, v249 row_shl:8 row_mask:0xf bank_mask:0xf// 000000008C78: 7E5802FA FF0108F9
	v_mov_b32_e32 v45, v248                                    // 000000008C80: 7E5A03F8
	v_mov_b32_e32 v46, v249                                    // 000000008C84: 7E5C03F9
	v_cndmask_b32_e64 v248, v45, v41, s[42:43]                 // 000000008C88: D10000F8 00AA532D
	v_cndmask_b32_e64 v250, v45, v42, s[78:79]                 // 000000008C90: D10000FA 013A552D
	v_cndmask_b32_e64 v249, v46, v43, s[42:43]                 // 000000008C98: D10000F9 00AA572E
	v_cndmask_b32_e64 v251, v46, v44, s[78:79]                 // 000000008CA0: D10000FB 013A592E
	v_mov_b32_dpp v41, v72 row_shr:4 row_mask:0xf bank_mask:0xf// 000000008CA8: 7E5202FA FF011448
	v_mov_b32_dpp v42, v72 row_shl:4 row_mask:0xf bank_mask:0xf// 000000008CB0: 7E5402FA FF010448
	v_cndmask_b32_e64 v252, v72, v41, s[44:45]                 // 000000008CB8: D10000FC 00B25348
	v_cndmask_b32_e64 v253, v42, v72, s[44:45]                 // 000000008CC0: D10000FD 00B2912A
	v_mov_b32_dpp v41, v252 row_shr:8 row_mask:0xf bank_mask:0xf// 000000008CC8: 7E5202FA FF0118FC
	v_mov_b32_dpp v42, v252 row_shl:8 row_mask:0xf bank_mask:0xf// 000000008CD0: 7E5402FA FF0108FC
	v_mov_b32_dpp v43, v253 row_shr:8 row_mask:0xf bank_mask:0xf// 000000008CD8: 7E5602FA FF0118FD
	v_mov_b32_dpp v44, v253 row_shl:8 row_mask:0xf bank_mask:0xf// 000000008CE0: 7E5802FA FF0108FD
	v_mov_b32_e32 v45, v252                                    // 000000008CE8: 7E5A03FC
	v_mov_b32_e32 v46, v253                                    // 000000008CEC: 7E5C03FD
	v_cndmask_b32_e64 v252, v45, v41, s[42:43]                 // 000000008CF0: D10000FC 00AA532D
	v_cndmask_b32_e64 v254, v45, v42, s[78:79]                 // 000000008CF8: D10000FE 013A552D
	v_cndmask_b32_e64 v253, v46, v43, s[42:43]                 // 000000008D00: D10000FD 00AA572E
	v_cndmask_b32_e64 v255, v46, v44, s[78:79]                 // 000000008D08: D10000FF 013A592E
	v_mul_f32_e32 v128, v54, v128                              // 000000008D10: 0B010136
	v_mul_f32_e32 v129, v54, v129                              // 000000008D14: 0B030336
	v_mul_f32_e32 v130, v54, v130                              // 000000008D18: 0B050536
	v_mul_f32_e32 v131, v54, v131                              // 000000008D1C: 0B070736
	v_mul_f32_e32 v132, v54, v132                              // 000000008D20: 0B090936
	v_mul_f32_e32 v133, v54, v133                              // 000000008D24: 0B0B0B36
	v_mul_f32_e32 v134, v54, v134                              // 000000008D28: 0B0D0D36
	v_mul_f32_e32 v135, v54, v135                              // 000000008D2C: 0B0F0F36
	v_mul_f32_e32 v136, v54, v136                              // 000000008D30: 0B111136
	v_mul_f32_e32 v137, v54, v137                              // 000000008D34: 0B131336
	v_mul_f32_e32 v138, v54, v138                              // 000000008D38: 0B151536
	v_mul_f32_e32 v139, v54, v139                              // 000000008D3C: 0B171736
	v_mul_f32_e32 v140, v54, v140                              // 000000008D40: 0B191936
	v_mul_f32_e32 v141, v54, v141                              // 000000008D44: 0B1B1B36
	v_mul_f32_e32 v142, v54, v142                              // 000000008D48: 0B1D1D36
	v_mul_f32_e32 v143, v54, v143                              // 000000008D4C: 0B1F1F36
	v_mul_f32_dpp v128, v248, v128 quad_perm:[0,0,0,0] row_mask:0xf bank_mask:0xf// 000000008D50: 0B0100FA FF0000F8
	v_mul_f32_dpp v129, v248, v129 quad_perm:[1,1,1,1] row_mask:0xf bank_mask:0xf// 000000008D58: 0B0302FA FF0055F8
	v_mul_f32_dpp v130, v248, v130 quad_perm:[2,2,2,2] row_mask:0xf bank_mask:0xf// 000000008D60: 0B0504FA FF00AAF8
	v_mul_f32_dpp v131, v248, v131 quad_perm:[3,3,3,3] row_mask:0xf bank_mask:0xf// 000000008D68: 0B0706FA FF00FFF8
	v_mul_f32_dpp v132, v249, v132 quad_perm:[0,0,0,0] row_mask:0xf bank_mask:0xf// 000000008D70: 0B0908FA FF0000F9
	v_mul_f32_dpp v133, v249, v133 quad_perm:[1,1,1,1] row_mask:0xf bank_mask:0xf// 000000008D78: 0B0B0AFA FF0055F9
	v_mul_f32_dpp v134, v249, v134 quad_perm:[2,2,2,2] row_mask:0xf bank_mask:0xf// 000000008D80: 0B0D0CFA FF00AAF9
	v_mul_f32_dpp v135, v249, v135 quad_perm:[3,3,3,3] row_mask:0xf bank_mask:0xf// 000000008D88: 0B0F0EFA FF00FFF9
	v_mul_f32_dpp v136, v250, v136 quad_perm:[0,0,0,0] row_mask:0xf bank_mask:0xf// 000000008D90: 0B1110FA FF0000FA
	v_mul_f32_dpp v137, v250, v137 quad_perm:[1,1,1,1] row_mask:0xf bank_mask:0xf// 000000008D98: 0B1312FA FF0055FA
	v_mul_f32_dpp v138, v250, v138 quad_perm:[2,2,2,2] row_mask:0xf bank_mask:0xf// 000000008DA0: 0B1514FA FF00AAFA
	v_mul_f32_dpp v139, v250, v139 quad_perm:[3,3,3,3] row_mask:0xf bank_mask:0xf// 000000008DA8: 0B1716FA FF00FFFA
	v_mul_f32_dpp v140, v251, v140 quad_perm:[0,0,0,0] row_mask:0xf bank_mask:0xf// 000000008DB0: 0B1918FA FF0000FB
	v_mul_f32_dpp v141, v251, v141 quad_perm:[1,1,1,1] row_mask:0xf bank_mask:0xf// 000000008DB8: 0B1B1AFA FF0055FB
	v_mul_f32_dpp v142, v251, v142 quad_perm:[2,2,2,2] row_mask:0xf bank_mask:0xf// 000000008DC0: 0B1D1CFA FF00AAFB
	v_mul_f32_dpp v143, v251, v143 quad_perm:[3,3,3,3] row_mask:0xf bank_mask:0xf// 000000008DC8: 0B1F1EFA FF00FFFB
	s_cmp_le_i32 s90, s89                                      // 000000008DD0: BF05595A
	s_cbranch_scc1 label_1B69                                  // 000000008DD4: BF850073
	v_mov_b32_e32 v69, 0xff800000                              // 000000008DD8: 7E8A02FF FF800000
	s_mov_b32 s60, s90                                         // 000000008DE0: BEBC005A
	s_add_u32 s61, s89, 0xff                                   // 000000008DE4: 803DFF59 000000FF
	v_mov_b32_e32 v41, s61                                     // 000000008DEC: 7E52023D
	v_lshrrev_b32_e32 v240, 4, v0                              // 000000008DF0: 21E00084
	v_mul_i32_i24_e32 v240, 4, v240                            // 000000008DF4: 0DE1E084
	v_add_u32_e32 v240, s60, v240                              // 000000008DF8: 69E1E03C
	v_and_b32_e32 v42, 15, v0                                  // 000000008DFC: 2654008F
	v_lshrrev_b32_e32 v42, 3, v42                              // 000000008E00: 20545483
	s_mov_b32 s61, 0                                           // 000000008E04: BEBD0080
	s_mul_i32 s60, 16, s7                                      // 000000008E08: 923C0790
	v_add_u32_e32 v42, s61, v42                                // 000000008E0C: 6854543D
	v_sub_u32_e32 v240, v240, v42                              // 000000008E10: 6BE055F0
	v_add_u32_e32 v240, s60, v240                              // 000000008E14: 69E1E03C
	v_add_u32_e32 v241, 1, v240                                // 000000008E18: 69E3E081
	v_add_u32_e32 v242, 2, v240                                // 000000008E1C: 69E5E082
	v_add_u32_e32 v243, 3, v240                                // 000000008E20: 69E7E083
	v_cmp_le_u32_e64 s[40:41], v240, v41                       // 000000008E24: D0CB0028 000253F0
	v_add_u32_e32 v240, 64, v240                               // 000000008E2C: 69E1E0C0
	s_nop 0                                                    // 000000008E30: BF800000
	v_cndmask_b32_e64 v128, v69, v128, s[40:41]                // 000000008E34: D1000080 00A30145
	v_cmp_le_u32_e64 s[40:41], v241, v41                       // 000000008E3C: D0CB0028 000253F1
	v_add_u32_e32 v241, 64, v241                               // 000000008E44: 69E3E2C0
	s_nop 0                                                    // 000000008E48: BF800000
	v_cndmask_b32_e64 v129, v69, v129, s[40:41]                // 000000008E4C: D1000081 00A30345
	v_cmp_le_u32_e64 s[40:41], v242, v41                       // 000000008E54: D0CB0028 000253F2
	v_add_u32_e32 v242, 64, v242                               // 000000008E5C: 69E5E4C0
	s_nop 0                                                    // 000000008E60: BF800000
	v_cndmask_b32_e64 v130, v69, v130, s[40:41]                // 000000008E64: D1000082 00A30545
	v_cmp_le_u32_e64 s[40:41], v243, v41                       // 000000008E6C: D0CB0028 000253F3
	v_add_u32_e32 v243, 64, v243                               // 000000008E74: 69E7E6C0
	s_nop 0                                                    // 000000008E78: BF800000
	v_cndmask_b32_e64 v131, v69, v131, s[40:41]                // 000000008E7C: D1000083 00A30745
	v_cmp_le_u32_e64 s[40:41], v240, v41                       // 000000008E84: D0CB0028 000253F0
	v_add_u32_e32 v240, 64, v240                               // 000000008E8C: 69E1E0C0
	s_nop 0                                                    // 000000008E90: BF800000
	v_cndmask_b32_e64 v132, v69, v132, s[40:41]                // 000000008E94: D1000084 00A30945
	v_cmp_le_u32_e64 s[40:41], v241, v41                       // 000000008E9C: D0CB0028 000253F1
	v_add_u32_e32 v241, 64, v241                               // 000000008EA4: 69E3E2C0
	s_nop 0                                                    // 000000008EA8: BF800000
	v_cndmask_b32_e64 v133, v69, v133, s[40:41]                // 000000008EAC: D1000085 00A30B45
	v_cmp_le_u32_e64 s[40:41], v242, v41                       // 000000008EB4: D0CB0028 000253F2
	v_add_u32_e32 v242, 64, v242                               // 000000008EBC: 69E5E4C0
	s_nop 0                                                    // 000000008EC0: BF800000
	v_cndmask_b32_e64 v134, v69, v134, s[40:41]                // 000000008EC4: D1000086 00A30D45
	v_cmp_le_u32_e64 s[40:41], v243, v41                       // 000000008ECC: D0CB0028 000253F3
	v_add_u32_e32 v243, 64, v243                               // 000000008ED4: 69E7E6C0
	s_nop 0                                                    // 000000008ED8: BF800000
	v_cndmask_b32_e64 v135, v69, v135, s[40:41]                // 000000008EDC: D1000087 00A30F45
	v_cmp_le_u32_e64 s[40:41], v240, v41                       // 000000008EE4: D0CB0028 000253F0
	v_add_u32_e32 v240, 64, v240                               // 000000008EEC: 69E1E0C0
	s_nop 0                                                    // 000000008EF0: BF800000
	v_cndmask_b32_e64 v136, v69, v136, s[40:41]                // 000000008EF4: D1000088 00A31145
	v_cmp_le_u32_e64 s[40:41], v241, v41                       // 000000008EFC: D0CB0028 000253F1
	v_add_u32_e32 v241, 64, v241                               // 000000008F04: 69E3E2C0
	s_nop 0                                                    // 000000008F08: BF800000
	v_cndmask_b32_e64 v137, v69, v137, s[40:41]                // 000000008F0C: D1000089 00A31345
	v_cmp_le_u32_e64 s[40:41], v242, v41                       // 000000008F14: D0CB0028 000253F2
	v_add_u32_e32 v242, 64, v242                               // 000000008F1C: 69E5E4C0
	s_nop 0                                                    // 000000008F20: BF800000
	v_cndmask_b32_e64 v138, v69, v138, s[40:41]                // 000000008F24: D100008A 00A31545
	v_cmp_le_u32_e64 s[40:41], v243, v41                       // 000000008F2C: D0CB0028 000253F3
	v_add_u32_e32 v243, 64, v243                               // 000000008F34: 69E7E6C0
	s_nop 0                                                    // 000000008F38: BF800000
	v_cndmask_b32_e64 v139, v69, v139, s[40:41]                // 000000008F3C: D100008B 00A31745
	v_cmp_le_u32_e64 s[40:41], v240, v41                       // 000000008F44: D0CB0028 000253F0
	v_add_u32_e32 v240, 64, v240                               // 000000008F4C: 69E1E0C0
	s_nop 0                                                    // 000000008F50: BF800000
	v_cndmask_b32_e64 v140, v69, v140, s[40:41]                // 000000008F54: D100008C 00A31945
	v_cmp_le_u32_e64 s[40:41], v241, v41                       // 000000008F5C: D0CB0028 000253F1
	v_add_u32_e32 v241, 64, v241                               // 000000008F64: 69E3E2C0
	s_nop 0                                                    // 000000008F68: BF800000
	v_cndmask_b32_e64 v141, v69, v141, s[40:41]                // 000000008F6C: D100008D 00A31B45
	v_cmp_le_u32_e64 s[40:41], v242, v41                       // 000000008F74: D0CB0028 000253F2
	v_add_u32_e32 v242, 64, v242                               // 000000008F7C: 69E5E4C0
	s_nop 0                                                    // 000000008F80: BF800000
	v_cndmask_b32_e64 v142, v69, v142, s[40:41]                // 000000008F84: D100008E 00A31D45
	v_cmp_le_u32_e64 s[40:41], v243, v41                       // 000000008F8C: D0CB0028 000253F3
	v_add_u32_e32 v243, 64, v243                               // 000000008F94: 69E7E6C0
	s_nop 0                                                    // 000000008F98: BF800000
	v_cndmask_b32_e64 v143, v69, v143, s[40:41]                // 000000008F9C: D100008F 00A31F45

0000000000008fa4 <label_1B69>:
	s_add_u32 s90, s91, s90                                    // 000000008FA4: 805A5A5B
	s_and_b32 s60, s72, 0xff                                   // 000000008FA8: 863CFF48 000000FF
	v_mov_b32_e32 v42, s60                                     // 000000008FB0: 7E54023C
	v_lshrrev_b32_e32 v240, 4, v0                              // 000000008FB4: 21E00084
	v_mul_i32_i24_e32 v240, 4, v240                            // 000000008FB8: 0DE1E084
	s_mul_i32 s60, s7, 16                                      // 000000008FBC: 923C9007
	v_add_u32_e32 v240, s60, v240                              // 000000008FC0: 69E1E03C
	v_add_u32_e32 v241, 1, v240                                // 000000008FC4: 69E3E081
	v_add_u32_e32 v242, 2, v240                                // 000000008FC8: 69E5E082
	v_add_u32_e32 v243, 3, v240                                // 000000008FCC: 69E7E083
	v_mov_b32_e32 v41, 0xff800000                              // 000000008FD0: 7E5202FF FF800000
	v_cmp_lt_u32_e64 s[40:41], v240, v42                       // 000000008FD8: D0C90028 000255F0
	v_add_u32_e32 v240, 64, v240                               // 000000008FE0: 69E1E0C0
	s_nop 0                                                    // 000000008FE4: BF800000
	v_cndmask_b32_e64 v128, v41, v128, s[40:41]                // 000000008FE8: D1000080 00A30129
	v_cmp_lt_u32_e64 s[40:41], v241, v42                       // 000000008FF0: D0C90028 000255F1
	v_add_u32_e32 v241, 64, v241                               // 000000008FF8: 69E3E2C0
	s_nop 0                                                    // 000000008FFC: BF800000
	v_cndmask_b32_e64 v129, v41, v129, s[40:41]                // 000000009000: D1000081 00A30329
	v_cmp_lt_u32_e64 s[40:41], v242, v42                       // 000000009008: D0C90028 000255F2
	v_add_u32_e32 v242, 64, v242                               // 000000009010: 69E5E4C0
	s_nop 0                                                    // 000000009014: BF800000
	v_cndmask_b32_e64 v130, v41, v130, s[40:41]                // 000000009018: D1000082 00A30529
	v_cmp_lt_u32_e64 s[40:41], v243, v42                       // 000000009020: D0C90028 000255F3
	v_add_u32_e32 v243, 64, v243                               // 000000009028: 69E7E6C0
	s_nop 0                                                    // 00000000902C: BF800000
	v_cndmask_b32_e64 v131, v41, v131, s[40:41]                // 000000009030: D1000083 00A30729
	v_cmp_lt_u32_e64 s[40:41], v240, v42                       // 000000009038: D0C90028 000255F0
	v_add_u32_e32 v240, 64, v240                               // 000000009040: 69E1E0C0
	s_nop 0                                                    // 000000009044: BF800000
	v_cndmask_b32_e64 v132, v41, v132, s[40:41]                // 000000009048: D1000084 00A30929
	v_cmp_lt_u32_e64 s[40:41], v241, v42                       // 000000009050: D0C90028 000255F1
	v_add_u32_e32 v241, 64, v241                               // 000000009058: 69E3E2C0
	s_nop 0                                                    // 00000000905C: BF800000
	v_cndmask_b32_e64 v133, v41, v133, s[40:41]                // 000000009060: D1000085 00A30B29
	v_cmp_lt_u32_e64 s[40:41], v242, v42                       // 000000009068: D0C90028 000255F2
	v_add_u32_e32 v242, 64, v242                               // 000000009070: 69E5E4C0
	s_nop 0                                                    // 000000009074: BF800000
	v_cndmask_b32_e64 v134, v41, v134, s[40:41]                // 000000009078: D1000086 00A30D29
	v_cmp_lt_u32_e64 s[40:41], v243, v42                       // 000000009080: D0C90028 000255F3
	v_add_u32_e32 v243, 64, v243                               // 000000009088: 69E7E6C0
	s_nop 0                                                    // 00000000908C: BF800000
	v_cndmask_b32_e64 v135, v41, v135, s[40:41]                // 000000009090: D1000087 00A30F29
	v_cmp_lt_u32_e64 s[40:41], v240, v42                       // 000000009098: D0C90028 000255F0
	v_add_u32_e32 v240, 64, v240                               // 0000000090A0: 69E1E0C0
	s_nop 0                                                    // 0000000090A4: BF800000
	v_cndmask_b32_e64 v136, v41, v136, s[40:41]                // 0000000090A8: D1000088 00A31129
	v_cmp_lt_u32_e64 s[40:41], v241, v42                       // 0000000090B0: D0C90028 000255F1
	v_add_u32_e32 v241, 64, v241                               // 0000000090B8: 69E3E2C0
	s_nop 0                                                    // 0000000090BC: BF800000
	v_cndmask_b32_e64 v137, v41, v137, s[40:41]                // 0000000090C0: D1000089 00A31329
	v_cmp_lt_u32_e64 s[40:41], v242, v42                       // 0000000090C8: D0C90028 000255F2
	v_add_u32_e32 v242, 64, v242                               // 0000000090D0: 69E5E4C0
	s_nop 0                                                    // 0000000090D4: BF800000
	v_cndmask_b32_e64 v138, v41, v138, s[40:41]                // 0000000090D8: D100008A 00A31529
	v_cmp_lt_u32_e64 s[40:41], v243, v42                       // 0000000090E0: D0C90028 000255F3
	v_add_u32_e32 v243, 64, v243                               // 0000000090E8: 69E7E6C0
	s_nop 0                                                    // 0000000090EC: BF800000
	v_cndmask_b32_e64 v139, v41, v139, s[40:41]                // 0000000090F0: D100008B 00A31729
	v_cmp_lt_u32_e64 s[40:41], v240, v42                       // 0000000090F8: D0C90028 000255F0
	v_add_u32_e32 v240, 64, v240                               // 000000009100: 69E1E0C0
	s_nop 0                                                    // 000000009104: BF800000
	v_cndmask_b32_e64 v140, v41, v140, s[40:41]                // 000000009108: D100008C 00A31929
	v_cmp_lt_u32_e64 s[40:41], v241, v42                       // 000000009110: D0C90028 000255F1
	v_add_u32_e32 v241, 64, v241                               // 000000009118: 69E3E2C0
	s_nop 0                                                    // 00000000911C: BF800000
	v_cndmask_b32_e64 v141, v41, v141, s[40:41]                // 000000009120: D100008D 00A31B29
	v_cmp_lt_u32_e64 s[40:41], v242, v42                       // 000000009128: D0C90028 000255F2
	v_add_u32_e32 v242, 64, v242                               // 000000009130: 69E5E4C0
	s_nop 0                                                    // 000000009134: BF800000
	v_cndmask_b32_e64 v142, v41, v142, s[40:41]                // 000000009138: D100008E 00A31D29
	v_cmp_lt_u32_e64 s[40:41], v243, v42                       // 000000009140: D0C90028 000255F3
	v_add_u32_e32 v243, 64, v243                               // 000000009148: 69E7E6C0
	s_nop 0                                                    // 00000000914C: BF800000
	v_cndmask_b32_e64 v143, v41, v143, s[40:41]                // 000000009150: D100008F 00A31F29
	v_mov_b32_e32 v62, v128                                    // 000000009158: 7E7C0380
	v_max3_f32 v62, v128, v129, v62                            // 00000000915C: D1D3003E 04FB0380
	v_max3_f32 v62, v130, v131, v62                            // 000000009164: D1D3003E 04FB0782
	v_max3_f32 v62, v132, v133, v62                            // 00000000916C: D1D3003E 04FB0B84
	v_max3_f32 v62, v134, v135, v62                            // 000000009174: D1D3003E 04FB0F86
	v_max3_f32 v62, v136, v137, v62                            // 00000000917C: D1D3003E 04FB1388
	v_max3_f32 v62, v138, v139, v62                            // 000000009184: D1D3003E 04FB178A
	v_max3_f32 v62, v140, v141, v62                            // 00000000918C: D1D3003E 04FB1B8C
	v_max3_f32 v62, v142, v143, v62                            // 000000009194: D1D3003E 04FB1F8E
	ds_write_b32 v11, v62 offset:16896                         // 00000000919C: D81A4200 00003E0B
	v_mul_u32_u24_dpp v41, v20, v68 row_newbcast:1 row_mask:0xf bank_mask:0xf// 0000000091A4: 105288FA FF015114
	v_mul_u32_u24_dpp v42, v20, v68 row_newbcast:5 row_mask:0xf bank_mask:0xf// 0000000091AC: 105488FA FF015514
	v_mul_u32_u24_dpp v43, v20, v68 row_newbcast:9 row_mask:0xf bank_mask:0xf// 0000000091B4: 105688FA FF015914
	v_mul_u32_u24_dpp v44, v20, v68 row_newbcast:13 row_mask:0xf bank_mask:0xf// 0000000091BC: 105888FA FF015D14
	v_add_u32_e32 v37, v41, v7                                 // 0000000091C4: 684A0F29
	v_add_u32_e32 v38, v42, v7                                 // 0000000091C8: 684C0F2A
	v_add_u32_e32 v39, v43, v7                                 // 0000000091CC: 684E0F2B
	v_add_u32_e32 v40, v44, v7                                 // 0000000091D0: 68500F2C
	v_mul_f32_e32 v224, v63, v224                              // 0000000091D4: 0BC1C13F
	v_mul_f32_e32 v225, v63, v225                              // 0000000091D8: 0BC3C33F
	v_mul_f32_e32 v226, v63, v226                              // 0000000091DC: 0BC5C53F
	v_mul_f32_e32 v227, v63, v227                              // 0000000091E0: 0BC7C73F
	v_mul_f32_e32 v228, v63, v228                              // 0000000091E4: 0BC9C93F
	v_mul_f32_e32 v229, v63, v229                              // 0000000091E8: 0BCBCB3F
	v_mul_f32_e32 v230, v63, v230                              // 0000000091EC: 0BCDCD3F
	v_mul_f32_e32 v231, v63, v231                              // 0000000091F0: 0BCFCF3F
	s_waitcnt lgkmcnt(0)                                       // 0000000091F4: BF8CC07F
	s_barrier                                                  // 0000000091F8: BF8A0000
	ds_read_b32 v80, v10 offset:16896                          // 0000000091FC: D86C4200 5000000A
	ds_read_b32 v81, v10 offset:16960                          // 000000009204: D86C4240 5100000A
	ds_read_b32 v82, v10 offset:17024                          // 00000000920C: D86C4280 5200000A
	ds_read_b32 v83, v10 offset:17088                          // 000000009214: D86C42C0 5300000A
	ds_read_b32 v84, v10 offset:17152                          // 00000000921C: D86C4300 5400000A
	ds_read_b32 v85, v10 offset:17216                          // 000000009224: D86C4340 5500000A
	ds_read_b32 v86, v10 offset:17280                          // 00000000922C: D86C4380 5600000A
	ds_read_b32 v87, v10 offset:17344                          // 000000009234: D86C43C0 5700000A
	ds_read_b32 v88, v10 offset:17408                          // 00000000923C: D86C4400 5800000A
	ds_read_b32 v89, v10 offset:17472                          // 000000009244: D86C4440 5900000A
	ds_read_b32 v90, v10 offset:17536                          // 00000000924C: D86C4480 5A00000A
	ds_read_b32 v91, v10 offset:17600                          // 000000009254: D86C44C0 5B00000A
	ds_read_b32 v92, v10 offset:17664                          // 00000000925C: D86C4500 5C00000A
	ds_read_b32 v93, v10 offset:17728                          // 000000009264: D86C4540 5D00000A
	ds_read_b32 v94, v10 offset:17792                          // 00000000926C: D86C4580 5E00000A
	ds_read_b32 v95, v10 offset:17856                          // 000000009274: D86C45C0 5F00000A
	v_mul_f32_e32 v192, v58, v192                              // 00000000927C: 0B81813A
	v_mul_f32_e32 v193, v58, v193                              // 000000009280: 0B83833A
	v_mul_f32_e32 v194, v58, v194                              // 000000009284: 0B85853A
	v_mul_f32_e32 v195, v58, v195                              // 000000009288: 0B87873A
	v_mul_f32_e32 v196, v58, v196                              // 00000000928C: 0B89893A
	v_mul_f32_e32 v197, v58, v197                              // 000000009290: 0B8B8B3A
	v_mul_f32_e32 v198, v58, v198                              // 000000009294: 0B8D8D3A
	v_mul_f32_e32 v199, v58, v199                              // 000000009298: 0B8F8F3A
	s_waitcnt lgkmcnt(0)                                       // 00000000929C: BF8CC07F
	v_max3_f32 v62, v80, v81, v62                              // 0000000092A0: D1D3003E 04FAA350
	v_max3_f32 v62, v82, v83, v62                              // 0000000092A8: D1D3003E 04FAA752
	v_max3_f32 v62, v84, v85, v62                              // 0000000092B0: D1D3003E 04FAAB54
	v_max3_f32 v62, v86, v87, v62                              // 0000000092B8: D1D3003E 04FAAF56
	v_max3_f32 v62, v88, v89, v62                              // 0000000092C0: D1D3003E 04FAB358
	v_max3_f32 v62, v90, v91, v62                              // 0000000092C8: D1D3003E 04FAB75A
	v_max3_f32 v62, v92, v93, v62                              // 0000000092D0: D1D3003E 04FABB5C
	v_max3_f32 v62, v94, v95, v62                              // 0000000092D8: D1D3003E 04FABF5E
	v_mov_b32_e32 v41, 0xff800000                              // 0000000092E0: 7E5202FF FF800000
	v_cmp_eq_u32_e64 s[40:41], v41, v14                        // 0000000092E8: D0CA0028 00021D29
	s_nop 1                                                    // 0000000092F0: BF800001
	v_max_f32_e32 v18, v62, v14                                // 0000000092F4: 16241D3E
	v_mul_f32_e32 v67, s64, v18                                // 0000000092F8: 0A862440
	v_fma_f32 v128, v128, s64, -v67                            // 0000000092FC: D1CB0080 850C8180
	v_fma_f32 v129, v129, s64, -v67                            // 000000009304: D1CB0081 850C8181
	v_fma_f32 v130, v130, s64, -v67                            // 00000000930C: D1CB0082 850C8182
	v_fma_f32 v131, v131, s64, -v67                            // 000000009314: D1CB0083 850C8183
	v_fma_f32 v132, v132, s64, -v67                            // 00000000931C: D1CB0084 850C8184
	v_fma_f32 v133, v133, s64, -v67                            // 000000009324: D1CB0085 850C8185
	v_fma_f32 v134, v134, s64, -v67                            // 00000000932C: D1CB0086 850C8186
	v_fma_f32 v135, v135, s64, -v67                            // 000000009334: D1CB0087 850C8187
	v_fma_f32 v136, v136, s64, -v67                            // 00000000933C: D1CB0088 850C8188
	v_fma_f32 v137, v137, s64, -v67                            // 000000009344: D1CB0089 850C8189
	v_fma_f32 v138, v138, s64, -v67                            // 00000000934C: D1CB008A 850C818A
	v_fma_f32 v139, v139, s64, -v67                            // 000000009354: D1CB008B 850C818B
	v_fma_f32 v140, v140, s64, -v67                            // 00000000935C: D1CB008C 850C818C
	v_fma_f32 v141, v141, s64, -v67                            // 000000009364: D1CB008D 850C818D
	v_fma_f32 v142, v142, s64, -v67                            // 00000000936C: D1CB008E 850C818E
	v_fma_f32 v143, v143, s64, -v67                            // 000000009374: D1CB008F 850C818F
	v_exp_f32_e32 v128, v128                                   // 00000000937C: 7F004180
	v_exp_f32_e32 v129, v129                                   // 000000009380: 7F024181
	v_exp_f32_e32 v130, v130                                   // 000000009384: 7F044182
	v_exp_f32_e32 v131, v131                                   // 000000009388: 7F064183
	v_exp_f32_e32 v132, v132                                   // 00000000938C: 7F084184
	v_exp_f32_e32 v133, v133                                   // 000000009390: 7F0A4185
	v_exp_f32_e32 v134, v134                                   // 000000009394: 7F0C4186
	v_exp_f32_e32 v135, v135                                   // 000000009398: 7F0E4187
	v_exp_f32_e32 v136, v136                                   // 00000000939C: 7F104188
	v_exp_f32_e32 v137, v137                                   // 0000000093A0: 7F124189
	v_exp_f32_e32 v138, v138                                   // 0000000093A4: 7F14418A
	v_exp_f32_e32 v139, v139                                   // 0000000093A8: 7F16418B
	v_exp_f32_e32 v140, v140                                   // 0000000093AC: 7F18418C
	v_exp_f32_e32 v141, v141                                   // 0000000093B0: 7F1A418D
	v_exp_f32_e32 v142, v142                                   // 0000000093B4: 7F1C418E
	v_exp_f32_e32 v143, v143                                   // 0000000093B8: 7F1E418F
	v_mul_f32_dpp v240, v252, v128 quad_perm:[0,0,0,0] row_mask:0xf bank_mask:0xf// 0000000093BC: 0BE100FA FF0000FC
	v_mul_f32_dpp v241, v252, v129 quad_perm:[1,1,1,1] row_mask:0xf bank_mask:0xf// 0000000093C4: 0BE302FA FF0055FC
	v_mul_f32_dpp v242, v252, v130 quad_perm:[2,2,2,2] row_mask:0xf bank_mask:0xf// 0000000093CC: 0BE504FA FF00AAFC
	v_mul_f32_dpp v243, v252, v131 quad_perm:[3,3,3,3] row_mask:0xf bank_mask:0xf// 0000000093D4: 0BE706FA FF00FFFC
	v_mul_f32_dpp v244, v253, v132 quad_perm:[0,0,0,0] row_mask:0xf bank_mask:0xf// 0000000093DC: 0BE908FA FF0000FD
	v_mul_f32_dpp v245, v253, v133 quad_perm:[1,1,1,1] row_mask:0xf bank_mask:0xf// 0000000093E4: 0BEB0AFA FF0055FD
	v_mul_f32_dpp v246, v253, v134 quad_perm:[2,2,2,2] row_mask:0xf bank_mask:0xf// 0000000093EC: 0BED0CFA FF00AAFD
	v_mul_f32_dpp v247, v253, v135 quad_perm:[3,3,3,3] row_mask:0xf bank_mask:0xf// 0000000093F4: 0BEF0EFA FF00FFFD
	v_mul_f32_dpp v248, v254, v136 quad_perm:[0,0,0,0] row_mask:0xf bank_mask:0xf// 0000000093FC: 0BF110FA FF0000FE
	v_mul_f32_dpp v249, v254, v137 quad_perm:[1,1,1,1] row_mask:0xf bank_mask:0xf// 000000009404: 0BF312FA FF0055FE
	v_mul_f32_dpp v250, v254, v138 quad_perm:[2,2,2,2] row_mask:0xf bank_mask:0xf// 00000000940C: 0BF514FA FF00AAFE
	v_mul_f32_dpp v251, v254, v139 quad_perm:[3,3,3,3] row_mask:0xf bank_mask:0xf// 000000009414: 0BF716FA FF00FFFE
	v_mul_f32_dpp v252, v255, v140 quad_perm:[0,0,0,0] row_mask:0xf bank_mask:0xf// 00000000941C: 0BF918FA FF0000FF
	v_mul_f32_dpp v253, v255, v141 quad_perm:[1,1,1,1] row_mask:0xf bank_mask:0xf// 000000009424: 0BFB1AFA FF0055FF
	v_mul_f32_dpp v254, v255, v142 quad_perm:[2,2,2,2] row_mask:0xf bank_mask:0xf// 00000000942C: 0BFD1CFA FF00AAFF
	v_mul_f32_dpp v255, v255, v143 quad_perm:[3,3,3,3] row_mask:0xf bank_mask:0xf// 000000009434: 0BFF1EFA FF00FFFF
	v_mov_b32_e32 v62, 0x358637bd                              // 00000000943C: 7E7C02FF 358637BD
	v_max3_f32 v62, |v240|, |v241|, v62                        // 000000009444: D1D3033E 04FBE3F0
	v_max3_f32 v62, |v242|, |v243|, v62                        // 00000000944C: D1D3033E 04FBE7F2
	v_max3_f32 v62, |v244|, |v245|, v62                        // 000000009454: D1D3033E 04FBEBF4
	v_max3_f32 v62, |v246|, |v247|, v62                        // 00000000945C: D1D3033E 04FBEFF6
	v_max3_f32 v62, |v248|, |v249|, v62                        // 000000009464: D1D3033E 04FBF3F8
	v_max3_f32 v62, |v250|, |v251|, v62                        // 00000000946C: D1D3033E 04FBF7FA
	v_max3_f32 v62, |v252|, |v253|, v62                        // 000000009474: D1D3033E 04FBFBFC
	v_max3_f32 v62, |v254|, |v255|, v62                        // 00000000947C: D1D3033E 04FBFFFE
	ds_write_b32 v11, v62 offset:20992                         // 000000009484: D81A5200 00003E0B
	v_sub_f32_e32 v63, v14, v18                                // 00000000948C: 047E250E
	v_cndmask_b32_e64 v63, v63, 0, s[40:41]                    // 000000009490: D100003F 00A1013F
	v_mov_b32_e32 v14, v18                                     // 000000009498: 7E1C0312
	v_mul_f32_e32 v63, s64, v63                                // 00000000949C: 0A7E7E40
	v_exp_f32_e32 v63, v63                                     // 0000000094A0: 7E7E413F
	s_waitcnt lgkmcnt(0)                                       // 0000000094A4: BF8CC07F
	s_barrier                                                  // 0000000094A8: BF8A0000
	ds_read_b32 v80, v10 offset:20992                          // 0000000094AC: D86C5200 5000000A
	ds_read_b32 v81, v10 offset:21056                          // 0000000094B4: D86C5240 5100000A
	ds_read_b32 v82, v10 offset:21120                          // 0000000094BC: D86C5280 5200000A
	ds_read_b32 v83, v10 offset:21184                          // 0000000094C4: D86C52C0 5300000A
	ds_read_b32 v84, v10 offset:21248                          // 0000000094CC: D86C5300 5400000A
	ds_read_b32 v85, v10 offset:21312                          // 0000000094D4: D86C5340 5500000A
	ds_read_b32 v86, v10 offset:21376                          // 0000000094DC: D86C5380 5600000A
	ds_read_b32 v87, v10 offset:21440                          // 0000000094E4: D86C53C0 5700000A
	ds_read_b32 v88, v10 offset:21504                          // 0000000094EC: D86C5400 5800000A
	ds_read_b32 v89, v10 offset:21568                          // 0000000094F4: D86C5440 5900000A
	ds_read_b32 v90, v10 offset:21632                          // 0000000094FC: D86C5480 5A00000A
	ds_read_b32 v91, v10 offset:21696                          // 000000009504: D86C54C0 5B00000A
	ds_read_b32 v92, v10 offset:21760                          // 00000000950C: D86C5500 5C00000A
	ds_read_b32 v93, v10 offset:21824                          // 000000009514: D86C5540 5D00000A
	ds_read_b32 v94, v10 offset:21888                          // 00000000951C: D86C5580 5E00000A
	ds_read_b32 v95, v10 offset:21952                          // 000000009524: D86C55C0 5F00000A
	v_mul_f32_e32 v47, v63, v47                                // 00000000952C: 0A5E5F3F
	v_mov_b32_e32 v18, v128                                    // 000000009530: 7E240380
	v_add_f32_e32 v18, v129, v18                               // 000000009534: 02242581
	v_add_f32_e32 v18, v130, v18                               // 000000009538: 02242582
	v_add_f32_e32 v18, v131, v18                               // 00000000953C: 02242583
	v_add_f32_e32 v18, v132, v18                               // 000000009540: 02242584
	v_add_f32_e32 v18, v133, v18                               // 000000009544: 02242585
	;; [unrolled: 1-line block ×3, first 2 shown]
	v_add_f32_e32 v18, v135, v18                               // 00000000954C: 02242587
	v_add_f32_e32 v18, v136, v18                               // 000000009550: 02242588
	v_add_f32_e32 v18, v137, v18                               // 000000009554: 02242589
	v_add_f32_e32 v18, v138, v18                               // 000000009558: 0224258A
	v_add_f32_e32 v18, v139, v18                               // 00000000955C: 0224258B
	v_add_f32_e32 v18, v140, v18                               // 000000009560: 0224258C
	v_add_f32_e32 v18, v141, v18                               // 000000009564: 0224258D
	v_add_f32_e32 v18, v142, v18                               // 000000009568: 0224258E
	v_add_f32_e32 v18, v143, v18                               // 00000000956C: 0224258F
	v_add_f32_e32 v47, v18, v47                                // 000000009570: 025E5F12
	s_waitcnt lgkmcnt(0)                                       // 000000009574: BF8CC07F
	v_max3_f32 v62, |v80|, |v81|, v62                          // 000000009578: D1D3033E 04FAA350
	v_max3_f32 v62, |v82|, |v83|, v62                          // 000000009580: D1D3033E 04FAA752
	v_max3_f32 v62, |v84|, |v85|, v62                          // 000000009588: D1D3033E 04FAAB54
	v_max3_f32 v62, |v86|, |v87|, v62                          // 000000009590: D1D3033E 04FAAF56
	v_max3_f32 v62, |v88|, |v89|, v62                          // 000000009598: D1D3033E 04FAB358
	v_max3_f32 v62, |v90|, |v91|, v62                          // 0000000095A0: D1D3033E 04FAB75A
	v_max3_f32 v62, |v92|, |v93|, v62                          // 0000000095A8: D1D3033E 04FABB5C
	v_max3_f32 v62, |v94|, |v95|, v62                          // 0000000095B0: D1D3033E 04FABF5E
	s_nop 2                                                    // 0000000095B8: BF800002
	v_rcp_f32_e32 v62, v62                                     // 0000000095BC: 7E7C453E
	s_nop 1                                                    // 0000000095C0: BF800001
	v_mul_f32_e32 v62, 0x43e00000, v62                         // 0000000095C4: 0A7C7CFF 43E00000
	v_mul_f32_e32 v128, v62, v240                              // 0000000095CC: 0B01E13E
	v_mul_f32_e32 v129, v62, v241                              // 0000000095D0: 0B03E33E
	v_mul_f32_e32 v130, v62, v242                              // 0000000095D4: 0B05E53E
	v_mul_f32_e32 v131, v62, v243                              // 0000000095D8: 0B07E73E
	v_mul_f32_e32 v132, v62, v244                              // 0000000095DC: 0B09E93E
	v_mul_f32_e32 v133, v62, v245                              // 0000000095E0: 0B0BEB3E
	v_mul_f32_e32 v134, v62, v246                              // 0000000095E4: 0B0DED3E
	v_mul_f32_e32 v135, v62, v247                              // 0000000095E8: 0B0FEF3E
	v_mul_f32_e32 v136, v62, v248                              // 0000000095EC: 0B11F13E
	v_mul_f32_e32 v137, v62, v249                              // 0000000095F0: 0B13F33E
	v_mul_f32_e32 v138, v62, v250                              // 0000000095F4: 0B15F53E
	v_mul_f32_e32 v139, v62, v251                              // 0000000095F8: 0B17F73E
	v_mul_f32_e32 v140, v62, v252                              // 0000000095FC: 0B19F93E
	v_mul_f32_e32 v141, v62, v253                              // 000000009600: 0B1BFB3E
	v_mul_f32_e32 v142, v62, v254                              // 000000009604: 0B1DFD3E
	v_mul_f32_e32 v143, v62, v255                              // 000000009608: 0B1FFF3E
	v_cvt_pk_fp8_f32 v128, v128, v129                          // 00000000960C: D2A20080 00030380
	v_cvt_pk_fp8_f32 v128, v130, v131 op_sel:[0,0,1]           // 000000009614: D2A24080 00030782
	v_cvt_pk_fp8_f32 v129, v132, v133                          // 00000000961C: D2A20081 00030B84
	v_cvt_pk_fp8_f32 v129, v134, v135 op_sel:[0,0,1]           // 000000009624: D2A24081 00030F86
	v_cvt_pk_fp8_f32 v130, v136, v137                          // 00000000962C: D2A20082 00031388
	v_cvt_pk_fp8_f32 v130, v138, v139 op_sel:[0,0,1]           // 000000009634: D2A24082 0003178A
	v_cvt_pk_fp8_f32 v131, v140, v141                          // 00000000963C: D2A20083 00031B8C
	v_cvt_pk_fp8_f32 v131, v142, v143 op_sel:[0,0,1]           // 000000009644: D2A24083 00031F8E
	ds_write_b32 v13, v128 offset:25088                        // 00000000964C: D81A6200 0000800D
	ds_write_b32 v13, v129 offset:26112                        // 000000009654: D81A6600 0000810D
	ds_write_b32 v13, v130 offset:27136                        // 00000000965C: D81A6A00 0000820D
	ds_write_b32 v13, v131 offset:28160                        // 000000009664: D81A6E00 0000830D
	v_add_f32_e32 v224, v224, v192                             // 00000000966C: 03C181E0
	v_add_f32_e32 v225, v225, v193                             // 000000009670: 03C383E1
	v_add_f32_e32 v226, v226, v194                             // 000000009674: 03C585E2
	v_add_f32_e32 v227, v227, v195                             // 000000009678: 03C787E3
	v_add_f32_e32 v228, v228, v196                             // 00000000967C: 03C989E4
	v_add_f32_e32 v229, v229, v197                             // 000000009680: 03CB8BE5
	v_add_f32_e32 v230, v230, v198                             // 000000009684: 03CD8DE6
	v_add_f32_e32 v231, v231, v199                             // 000000009688: 03CF8FE7
	v_rcp_f32_e32 v58, v62                                     // 00000000968C: 7E74453E
	s_waitcnt lgkmcnt(0)                                       // 000000009690: BF8CC07F
	s_barrier                                                  // 000000009694: BF8A0000
	ds_read_b64 v[128:129], v12 offset:25088                   // 000000009698: D8EC6200 8000000C
	ds_read_b64 v[130:131], v12 offset:25216                   // 0000000096A0: D8EC6280 8200000C
	ds_read_b64 v[132:133], v12 offset:26112                   // 0000000096A8: D8EC6600 8400000C
	ds_read_b64 v[134:135], v12 offset:26240                   // 0000000096B0: D8EC6680 8600000C
	ds_read_b64 v[136:137], v12 offset:27136                   // 0000000096B8: D8EC6A00 8800000C
	ds_read_b64 v[138:139], v12 offset:27264                   // 0000000096C0: D8EC6A80 8A00000C
	ds_read_b64 v[140:141], v12 offset:28160                   // 0000000096C8: D8EC6E00 8C00000C
	ds_read_b64 v[142:143], v12 offset:28288                   // 0000000096D0: D8EC6E80 8E00000C
	s_waitcnt vmcnt(0)                                         // 0000000096D8: BF8C0F70
	s_barrier                                                  // 0000000096DC: BF8A0000
	s_waitcnt lgkmcnt(7)                                       // 0000000096E0: BF8CC77F
	v_mfma_f32_16x16x32_fp8_fp8 v[192:195], a[64:65], v[128:129], 0// 0000000096E4: D3F300C0 0A030140
	s_waitcnt lgkmcnt(6)                                       // 0000000096EC: BF8CC67F
	v_mfma_f32_16x16x32_fp8_fp8 v[192:195], a[66:67], v[130:131], v[192:195]// 0000000096F0: D3F300C0 0F030542
	s_waitcnt lgkmcnt(5)                                       // 0000000096F8: BF8CC57F
	v_mfma_f32_16x16x32_fp8_fp8 v[192:195], a[68:69], v[132:133], v[192:195]// 0000000096FC: D3F300C0 0F030944
	s_waitcnt lgkmcnt(4)                                       // 000000009704: BF8CC47F
	v_mfma_f32_16x16x32_fp8_fp8 v[192:195], a[70:71], v[134:135], v[192:195]// 000000009708: D3F300C0 0F030D46
	s_waitcnt lgkmcnt(3)                                       // 000000009710: BF8CC37F
	v_mfma_f32_16x16x32_fp8_fp8 v[192:195], a[72:73], v[136:137], v[192:195]// 000000009714: D3F300C0 0F031148
	s_waitcnt lgkmcnt(2)                                       // 00000000971C: BF8CC27F
	v_mfma_f32_16x16x32_fp8_fp8 v[192:195], a[74:75], v[138:139], v[192:195]// 000000009720: D3F300C0 0F03154A
	s_waitcnt lgkmcnt(1)                                       // 000000009728: BF8CC17F
	v_mfma_f32_16x16x32_fp8_fp8 v[192:195], a[76:77], v[140:141], v[192:195]// 00000000972C: D3F300C0 0F03194C
	s_waitcnt lgkmcnt(0)                                       // 000000009734: BF8CC07F
	v_mfma_f32_16x16x32_fp8_fp8 v[192:195], a[78:79], v[142:143], v[192:195]// 000000009738: D3F300C0 0F031D4E
	v_mfma_f32_16x16x32_fp8_fp8 v[196:199], a[80:81], v[128:129], 0// 000000009740: D3F300C4 0A030150
	v_mfma_f32_16x16x32_fp8_fp8 v[196:199], a[82:83], v[130:131], v[196:199]// 000000009748: D3F300C4 0F130552
	v_mfma_f32_16x16x32_fp8_fp8 v[196:199], a[84:85], v[132:133], v[196:199]// 000000009750: D3F300C4 0F130954
	v_mfma_f32_16x16x32_fp8_fp8 v[196:199], a[86:87], v[134:135], v[196:199]// 000000009758: D3F300C4 0F130D56
	v_mfma_f32_16x16x32_fp8_fp8 v[196:199], a[88:89], v[136:137], v[196:199]// 000000009760: D3F300C4 0F131158
	v_mfma_f32_16x16x32_fp8_fp8 v[196:199], a[90:91], v[138:139], v[196:199]// 000000009768: D3F300C4 0F13155A
	v_mfma_f32_16x16x32_fp8_fp8 v[196:199], a[92:93], v[140:141], v[196:199]// 000000009770: D3F300C4 0F13195C
	v_mfma_f32_16x16x32_fp8_fp8 v[196:199], a[94:95], v[142:143], v[196:199]// 000000009778: D3F300C4 0F131D5E
	s_nop 4                                                    // 000000009780: BF800004
	s_branch label_2056                                        // 000000009784: BF8202F4

0000000000009788 <label_1D62>:
	s_waitcnt vmcnt(8) lgkmcnt(0)                              // 000000009788: BF8C0078
	s_barrier                                                  // 00000000978C: BF8A0000
	v_mfma_f32_16x16x32_fp8_fp8 v[128:131], a[32:33], v[96:97], 0// 000000009790: D3F30080 0A02C120
	v_mfma_f32_16x16x32_fp8_fp8 v[128:131], a[34:35], v[98:99], v[128:131]// 000000009798: D3F30080 0E02C522
	v_mfma_f32_16x16x32_fp8_fp8 v[128:131], a[36:37], v[100:101], v[128:131]// 0000000097A0: D3F30080 0E02C924
	v_mfma_f32_16x16x32_fp8_fp8 v[128:131], a[38:39], v[102:103], v[128:131]// 0000000097A8: D3F30080 0E02CD26
	v_mfma_f32_16x16x32_fp8_fp8 v[132:135], a[40:41], v[96:97], 0// 0000000097B0: D3F30084 0A02C128
	v_mfma_f32_16x16x32_fp8_fp8 v[132:135], a[42:43], v[98:99], v[132:135]// 0000000097B8: D3F30084 0E12C52A
	v_mfma_f32_16x16x32_fp8_fp8 v[132:135], a[44:45], v[100:101], v[132:135]// 0000000097C0: D3F30084 0E12C92C
	v_mfma_f32_16x16x32_fp8_fp8 v[132:135], a[46:47], v[102:103], v[132:135]// 0000000097C8: D3F30084 0E12CD2E
	v_mfma_f32_16x16x32_fp8_fp8 v[136:139], a[48:49], v[96:97], 0// 0000000097D0: D3F30088 0A02C130
	v_mfma_f32_16x16x32_fp8_fp8 v[136:139], a[50:51], v[98:99], v[136:139]// 0000000097D8: D3F30088 0E22C532
	v_mfma_f32_16x16x32_fp8_fp8 v[136:139], a[52:53], v[100:101], v[136:139]// 0000000097E0: D3F30088 0E22C934
	v_mfma_f32_16x16x32_fp8_fp8 v[136:139], a[54:55], v[102:103], v[136:139]// 0000000097E8: D3F30088 0E22CD36
	v_mfma_f32_16x16x32_fp8_fp8 v[140:143], a[56:57], v[96:97], 0// 0000000097F0: D3F3008C 0A02C138
	v_mfma_f32_16x16x32_fp8_fp8 v[140:143], a[58:59], v[98:99], v[140:143]// 0000000097F8: D3F3008C 0E32C53A
	v_mfma_f32_16x16x32_fp8_fp8 v[140:143], a[60:61], v[100:101], v[140:143]// 000000009800: D3F3008C 0E32C93C
	v_mfma_f32_16x16x32_fp8_fp8 v[140:143], a[62:63], v[102:103], v[140:143]// 000000009808: D3F3008C 0E32CD3E
	v_mov_b32_dpp v41, v53 row_shr:4 row_mask:0xf bank_mask:0xf// 000000009810: 7E5202FA FF011435
	v_mov_b32_dpp v42, v53 row_shl:4 row_mask:0xf bank_mask:0xf// 000000009818: 7E5402FA FF010435
	v_cndmask_b32_e64 v248, v53, v41, s[44:45]                 // 000000009820: D10000F8 00B25335
	v_cndmask_b32_e64 v249, v42, v53, s[44:45]                 // 000000009828: D10000F9 00B26B2A
	v_mov_b32_dpp v41, v248 row_shr:8 row_mask:0xf bank_mask:0xf// 000000009830: 7E5202FA FF0118F8
	v_mov_b32_dpp v42, v248 row_shl:8 row_mask:0xf bank_mask:0xf// 000000009838: 7E5402FA FF0108F8
	v_mov_b32_dpp v43, v249 row_shr:8 row_mask:0xf bank_mask:0xf// 000000009840: 7E5602FA FF0118F9
	v_mov_b32_dpp v44, v249 row_shl:8 row_mask:0xf bank_mask:0xf// 000000009848: 7E5802FA FF0108F9
	v_mov_b32_e32 v45, v248                                    // 000000009850: 7E5A03F8
	v_mov_b32_e32 v46, v249                                    // 000000009854: 7E5C03F9
	v_cndmask_b32_e64 v248, v45, v41, s[42:43]                 // 000000009858: D10000F8 00AA532D
	v_cndmask_b32_e64 v250, v45, v42, s[78:79]                 // 000000009860: D10000FA 013A552D
	v_cndmask_b32_e64 v249, v46, v43, s[42:43]                 // 000000009868: D10000F9 00AA572E
	v_cndmask_b32_e64 v251, v46, v44, s[78:79]                 // 000000009870: D10000FB 013A592E
	v_mov_b32_dpp v41, v73 row_shr:4 row_mask:0xf bank_mask:0xf// 000000009878: 7E5202FA FF011449
	v_mov_b32_dpp v42, v73 row_shl:4 row_mask:0xf bank_mask:0xf// 000000009880: 7E5402FA FF010449
	v_cndmask_b32_e64 v252, v73, v41, s[44:45]                 // 000000009888: D10000FC 00B25349
	v_cndmask_b32_e64 v253, v42, v73, s[44:45]                 // 000000009890: D10000FD 00B2932A
	v_mov_b32_dpp v41, v252 row_shr:8 row_mask:0xf bank_mask:0xf// 000000009898: 7E5202FA FF0118FC
	v_mov_b32_dpp v42, v252 row_shl:8 row_mask:0xf bank_mask:0xf// 0000000098A0: 7E5402FA FF0108FC
	v_mov_b32_dpp v43, v253 row_shr:8 row_mask:0xf bank_mask:0xf// 0000000098A8: 7E5602FA FF0118FD
	v_mov_b32_dpp v44, v253 row_shl:8 row_mask:0xf bank_mask:0xf// 0000000098B0: 7E5802FA FF0108FD
	v_mov_b32_e32 v45, v252                                    // 0000000098B8: 7E5A03FC
	v_mov_b32_e32 v46, v253                                    // 0000000098BC: 7E5C03FD
	v_cndmask_b32_e64 v252, v45, v41, s[42:43]                 // 0000000098C0: D10000FC 00AA532D
	v_cndmask_b32_e64 v254, v45, v42, s[78:79]                 // 0000000098C8: D10000FE 013A552D
	v_cndmask_b32_e64 v253, v46, v43, s[42:43]                 // 0000000098D0: D10000FD 00AA572E
	v_cndmask_b32_e64 v255, v46, v44, s[78:79]                 // 0000000098D8: D10000FF 013A592E
	v_mul_f32_e32 v128, v54, v128                              // 0000000098E0: 0B010136
	v_mul_f32_e32 v129, v54, v129                              // 0000000098E4: 0B030336
	v_mul_f32_e32 v130, v54, v130                              // 0000000098E8: 0B050536
	v_mul_f32_e32 v131, v54, v131                              // 0000000098EC: 0B070736
	v_mul_f32_e32 v132, v54, v132                              // 0000000098F0: 0B090936
	v_mul_f32_e32 v133, v54, v133                              // 0000000098F4: 0B0B0B36
	v_mul_f32_e32 v134, v54, v134                              // 0000000098F8: 0B0D0D36
	v_mul_f32_e32 v135, v54, v135                              // 0000000098FC: 0B0F0F36
	v_mul_f32_e32 v136, v54, v136                              // 000000009900: 0B111136
	v_mul_f32_e32 v137, v54, v137                              // 000000009904: 0B131336
	v_mul_f32_e32 v138, v54, v138                              // 000000009908: 0B151536
	v_mul_f32_e32 v139, v54, v139                              // 00000000990C: 0B171736
	v_mul_f32_e32 v140, v54, v140                              // 000000009910: 0B191936
	v_mul_f32_e32 v141, v54, v141                              // 000000009914: 0B1B1B36
	v_mul_f32_e32 v142, v54, v142                              // 000000009918: 0B1D1D36
	v_mul_f32_e32 v143, v54, v143                              // 00000000991C: 0B1F1F36
	v_mul_f32_dpp v128, v248, v128 quad_perm:[0,0,0,0] row_mask:0xf bank_mask:0xf// 000000009920: 0B0100FA FF0000F8
	v_mul_f32_dpp v129, v248, v129 quad_perm:[1,1,1,1] row_mask:0xf bank_mask:0xf// 000000009928: 0B0302FA FF0055F8
	v_mul_f32_dpp v130, v248, v130 quad_perm:[2,2,2,2] row_mask:0xf bank_mask:0xf// 000000009930: 0B0504FA FF00AAF8
	v_mul_f32_dpp v131, v248, v131 quad_perm:[3,3,3,3] row_mask:0xf bank_mask:0xf// 000000009938: 0B0706FA FF00FFF8
	v_mul_f32_dpp v132, v249, v132 quad_perm:[0,0,0,0] row_mask:0xf bank_mask:0xf// 000000009940: 0B0908FA FF0000F9
	v_mul_f32_dpp v133, v249, v133 quad_perm:[1,1,1,1] row_mask:0xf bank_mask:0xf// 000000009948: 0B0B0AFA FF0055F9
	v_mul_f32_dpp v134, v249, v134 quad_perm:[2,2,2,2] row_mask:0xf bank_mask:0xf// 000000009950: 0B0D0CFA FF00AAF9
	v_mul_f32_dpp v135, v249, v135 quad_perm:[3,3,3,3] row_mask:0xf bank_mask:0xf// 000000009958: 0B0F0EFA FF00FFF9
	v_mul_f32_dpp v136, v250, v136 quad_perm:[0,0,0,0] row_mask:0xf bank_mask:0xf// 000000009960: 0B1110FA FF0000FA
	v_mul_f32_dpp v137, v250, v137 quad_perm:[1,1,1,1] row_mask:0xf bank_mask:0xf// 000000009968: 0B1312FA FF0055FA
	v_mul_f32_dpp v138, v250, v138 quad_perm:[2,2,2,2] row_mask:0xf bank_mask:0xf// 000000009970: 0B1514FA FF00AAFA
	v_mul_f32_dpp v139, v250, v139 quad_perm:[3,3,3,3] row_mask:0xf bank_mask:0xf// 000000009978: 0B1716FA FF00FFFA
	v_mul_f32_dpp v140, v251, v140 quad_perm:[0,0,0,0] row_mask:0xf bank_mask:0xf// 000000009980: 0B1918FA FF0000FB
	v_mul_f32_dpp v141, v251, v141 quad_perm:[1,1,1,1] row_mask:0xf bank_mask:0xf// 000000009988: 0B1B1AFA FF0055FB
	v_mul_f32_dpp v142, v251, v142 quad_perm:[2,2,2,2] row_mask:0xf bank_mask:0xf// 000000009990: 0B1D1CFA FF00AAFB
	v_mul_f32_dpp v143, v251, v143 quad_perm:[3,3,3,3] row_mask:0xf bank_mask:0xf// 000000009998: 0B1F1EFA FF00FFFB
	s_cmp_le_i32 s90, s89                                      // 0000000099A0: BF05595A
	s_cbranch_scc1 label_1E5D                                  // 0000000099A4: BF850073
	v_mov_b32_e32 v69, 0xff800000                              // 0000000099A8: 7E8A02FF FF800000
	s_mov_b32 s60, s90                                         // 0000000099B0: BEBC005A
	s_add_u32 s61, s89, 0xff                                   // 0000000099B4: 803DFF59 000000FF
	v_mov_b32_e32 v41, s61                                     // 0000000099BC: 7E52023D
	v_lshrrev_b32_e32 v240, 4, v0                              // 0000000099C0: 21E00084
	v_mul_i32_i24_e32 v240, 4, v240                            // 0000000099C4: 0DE1E084
	v_add_u32_e32 v240, s60, v240                              // 0000000099C8: 69E1E03C
	v_and_b32_e32 v42, 15, v0                                  // 0000000099CC: 2654008F
	v_lshrrev_b32_e32 v42, 3, v42                              // 0000000099D0: 20545483
	s_mov_b32 s61, 0                                           // 0000000099D4: BEBD0080
	s_mul_i32 s60, 16, s7                                      // 0000000099D8: 923C0790
	v_add_u32_e32 v42, s61, v42                                // 0000000099DC: 6854543D
	v_sub_u32_e32 v240, v240, v42                              // 0000000099E0: 6BE055F0
	v_add_u32_e32 v240, s60, v240                              // 0000000099E4: 69E1E03C
	v_add_u32_e32 v241, 1, v240                                // 0000000099E8: 69E3E081
	v_add_u32_e32 v242, 2, v240                                // 0000000099EC: 69E5E082
	v_add_u32_e32 v243, 3, v240                                // 0000000099F0: 69E7E083
	v_cmp_le_u32_e64 s[40:41], v240, v41                       // 0000000099F4: D0CB0028 000253F0
	v_add_u32_e32 v240, 64, v240                               // 0000000099FC: 69E1E0C0
	s_nop 0                                                    // 000000009A00: BF800000
	v_cndmask_b32_e64 v128, v69, v128, s[40:41]                // 000000009A04: D1000080 00A30145
	v_cmp_le_u32_e64 s[40:41], v241, v41                       // 000000009A0C: D0CB0028 000253F1
	v_add_u32_e32 v241, 64, v241                               // 000000009A14: 69E3E2C0
	s_nop 0                                                    // 000000009A18: BF800000
	v_cndmask_b32_e64 v129, v69, v129, s[40:41]                // 000000009A1C: D1000081 00A30345
	v_cmp_le_u32_e64 s[40:41], v242, v41                       // 000000009A24: D0CB0028 000253F2
	v_add_u32_e32 v242, 64, v242                               // 000000009A2C: 69E5E4C0
	s_nop 0                                                    // 000000009A30: BF800000
	v_cndmask_b32_e64 v130, v69, v130, s[40:41]                // 000000009A34: D1000082 00A30545
	v_cmp_le_u32_e64 s[40:41], v243, v41                       // 000000009A3C: D0CB0028 000253F3
	v_add_u32_e32 v243, 64, v243                               // 000000009A44: 69E7E6C0
	s_nop 0                                                    // 000000009A48: BF800000
	v_cndmask_b32_e64 v131, v69, v131, s[40:41]                // 000000009A4C: D1000083 00A30745
	v_cmp_le_u32_e64 s[40:41], v240, v41                       // 000000009A54: D0CB0028 000253F0
	v_add_u32_e32 v240, 64, v240                               // 000000009A5C: 69E1E0C0
	s_nop 0                                                    // 000000009A60: BF800000
	v_cndmask_b32_e64 v132, v69, v132, s[40:41]                // 000000009A64: D1000084 00A30945
	v_cmp_le_u32_e64 s[40:41], v241, v41                       // 000000009A6C: D0CB0028 000253F1
	v_add_u32_e32 v241, 64, v241                               // 000000009A74: 69E3E2C0
	s_nop 0                                                    // 000000009A78: BF800000
	v_cndmask_b32_e64 v133, v69, v133, s[40:41]                // 000000009A7C: D1000085 00A30B45
	v_cmp_le_u32_e64 s[40:41], v242, v41                       // 000000009A84: D0CB0028 000253F2
	v_add_u32_e32 v242, 64, v242                               // 000000009A8C: 69E5E4C0
	s_nop 0                                                    // 000000009A90: BF800000
	v_cndmask_b32_e64 v134, v69, v134, s[40:41]                // 000000009A94: D1000086 00A30D45
	v_cmp_le_u32_e64 s[40:41], v243, v41                       // 000000009A9C: D0CB0028 000253F3
	v_add_u32_e32 v243, 64, v243                               // 000000009AA4: 69E7E6C0
	s_nop 0                                                    // 000000009AA8: BF800000
	v_cndmask_b32_e64 v135, v69, v135, s[40:41]                // 000000009AAC: D1000087 00A30F45
	v_cmp_le_u32_e64 s[40:41], v240, v41                       // 000000009AB4: D0CB0028 000253F0
	v_add_u32_e32 v240, 64, v240                               // 000000009ABC: 69E1E0C0
	s_nop 0                                                    // 000000009AC0: BF800000
	v_cndmask_b32_e64 v136, v69, v136, s[40:41]                // 000000009AC4: D1000088 00A31145
	v_cmp_le_u32_e64 s[40:41], v241, v41                       // 000000009ACC: D0CB0028 000253F1
	v_add_u32_e32 v241, 64, v241                               // 000000009AD4: 69E3E2C0
	s_nop 0                                                    // 000000009AD8: BF800000
	v_cndmask_b32_e64 v137, v69, v137, s[40:41]                // 000000009ADC: D1000089 00A31345
	v_cmp_le_u32_e64 s[40:41], v242, v41                       // 000000009AE4: D0CB0028 000253F2
	v_add_u32_e32 v242, 64, v242                               // 000000009AEC: 69E5E4C0
	s_nop 0                                                    // 000000009AF0: BF800000
	v_cndmask_b32_e64 v138, v69, v138, s[40:41]                // 000000009AF4: D100008A 00A31545
	v_cmp_le_u32_e64 s[40:41], v243, v41                       // 000000009AFC: D0CB0028 000253F3
	v_add_u32_e32 v243, 64, v243                               // 000000009B04: 69E7E6C0
	s_nop 0                                                    // 000000009B08: BF800000
	v_cndmask_b32_e64 v139, v69, v139, s[40:41]                // 000000009B0C: D100008B 00A31745
	v_cmp_le_u32_e64 s[40:41], v240, v41                       // 000000009B14: D0CB0028 000253F0
	v_add_u32_e32 v240, 64, v240                               // 000000009B1C: 69E1E0C0
	s_nop 0                                                    // 000000009B20: BF800000
	v_cndmask_b32_e64 v140, v69, v140, s[40:41]                // 000000009B24: D100008C 00A31945
	v_cmp_le_u32_e64 s[40:41], v241, v41                       // 000000009B2C: D0CB0028 000253F1
	v_add_u32_e32 v241, 64, v241                               // 000000009B34: 69E3E2C0
	s_nop 0                                                    // 000000009B38: BF800000
	v_cndmask_b32_e64 v141, v69, v141, s[40:41]                // 000000009B3C: D100008D 00A31B45
	v_cmp_le_u32_e64 s[40:41], v242, v41                       // 000000009B44: D0CB0028 000253F2
	v_add_u32_e32 v242, 64, v242                               // 000000009B4C: 69E5E4C0
	s_nop 0                                                    // 000000009B50: BF800000
	v_cndmask_b32_e64 v142, v69, v142, s[40:41]                // 000000009B54: D100008E 00A31D45
	v_cmp_le_u32_e64 s[40:41], v243, v41                       // 000000009B5C: D0CB0028 000253F3
	v_add_u32_e32 v243, 64, v243                               // 000000009B64: 69E7E6C0
	s_nop 0                                                    // 000000009B68: BF800000
	v_cndmask_b32_e64 v143, v69, v143, s[40:41]                // 000000009B6C: D100008F 00A31F45

0000000000009b74 <label_1E5D>:
	s_add_u32 s90, s91, s90                                    // 000000009B74: 805A5A5B
	s_and_b32 s60, s72, 0xff                                   // 000000009B78: 863CFF48 000000FF
	v_mov_b32_e32 v42, s60                                     // 000000009B80: 7E54023C
	v_lshrrev_b32_e32 v240, 4, v0                              // 000000009B84: 21E00084
	v_mul_i32_i24_e32 v240, 4, v240                            // 000000009B88: 0DE1E084
	s_mul_i32 s60, s7, 16                                      // 000000009B8C: 923C9007
	v_add_u32_e32 v240, s60, v240                              // 000000009B90: 69E1E03C
	v_add_u32_e32 v241, 1, v240                                // 000000009B94: 69E3E081
	v_add_u32_e32 v242, 2, v240                                // 000000009B98: 69E5E082
	v_add_u32_e32 v243, 3, v240                                // 000000009B9C: 69E7E083
	v_mov_b32_e32 v41, 0xff800000                              // 000000009BA0: 7E5202FF FF800000
	v_cmp_lt_u32_e64 s[40:41], v240, v42                       // 000000009BA8: D0C90028 000255F0
	v_add_u32_e32 v240, 64, v240                               // 000000009BB0: 69E1E0C0
	s_nop 0                                                    // 000000009BB4: BF800000
	v_cndmask_b32_e64 v128, v41, v128, s[40:41]                // 000000009BB8: D1000080 00A30129
	v_cmp_lt_u32_e64 s[40:41], v241, v42                       // 000000009BC0: D0C90028 000255F1
	v_add_u32_e32 v241, 64, v241                               // 000000009BC8: 69E3E2C0
	s_nop 0                                                    // 000000009BCC: BF800000
	v_cndmask_b32_e64 v129, v41, v129, s[40:41]                // 000000009BD0: D1000081 00A30329
	v_cmp_lt_u32_e64 s[40:41], v242, v42                       // 000000009BD8: D0C90028 000255F2
	v_add_u32_e32 v242, 64, v242                               // 000000009BE0: 69E5E4C0
	s_nop 0                                                    // 000000009BE4: BF800000
	v_cndmask_b32_e64 v130, v41, v130, s[40:41]                // 000000009BE8: D1000082 00A30529
	v_cmp_lt_u32_e64 s[40:41], v243, v42                       // 000000009BF0: D0C90028 000255F3
	v_add_u32_e32 v243, 64, v243                               // 000000009BF8: 69E7E6C0
	s_nop 0                                                    // 000000009BFC: BF800000
	v_cndmask_b32_e64 v131, v41, v131, s[40:41]                // 000000009C00: D1000083 00A30729
	v_cmp_lt_u32_e64 s[40:41], v240, v42                       // 000000009C08: D0C90028 000255F0
	v_add_u32_e32 v240, 64, v240                               // 000000009C10: 69E1E0C0
	s_nop 0                                                    // 000000009C14: BF800000
	v_cndmask_b32_e64 v132, v41, v132, s[40:41]                // 000000009C18: D1000084 00A30929
	v_cmp_lt_u32_e64 s[40:41], v241, v42                       // 000000009C20: D0C90028 000255F1
	v_add_u32_e32 v241, 64, v241                               // 000000009C28: 69E3E2C0
	s_nop 0                                                    // 000000009C2C: BF800000
	v_cndmask_b32_e64 v133, v41, v133, s[40:41]                // 000000009C30: D1000085 00A30B29
	v_cmp_lt_u32_e64 s[40:41], v242, v42                       // 000000009C38: D0C90028 000255F2
	v_add_u32_e32 v242, 64, v242                               // 000000009C40: 69E5E4C0
	s_nop 0                                                    // 000000009C44: BF800000
	v_cndmask_b32_e64 v134, v41, v134, s[40:41]                // 000000009C48: D1000086 00A30D29
	v_cmp_lt_u32_e64 s[40:41], v243, v42                       // 000000009C50: D0C90028 000255F3
	v_add_u32_e32 v243, 64, v243                               // 000000009C58: 69E7E6C0
	s_nop 0                                                    // 000000009C5C: BF800000
	v_cndmask_b32_e64 v135, v41, v135, s[40:41]                // 000000009C60: D1000087 00A30F29
	v_cmp_lt_u32_e64 s[40:41], v240, v42                       // 000000009C68: D0C90028 000255F0
	v_add_u32_e32 v240, 64, v240                               // 000000009C70: 69E1E0C0
	s_nop 0                                                    // 000000009C74: BF800000
	v_cndmask_b32_e64 v136, v41, v136, s[40:41]                // 000000009C78: D1000088 00A31129
	v_cmp_lt_u32_e64 s[40:41], v241, v42                       // 000000009C80: D0C90028 000255F1
	v_add_u32_e32 v241, 64, v241                               // 000000009C88: 69E3E2C0
	s_nop 0                                                    // 000000009C8C: BF800000
	v_cndmask_b32_e64 v137, v41, v137, s[40:41]                // 000000009C90: D1000089 00A31329
	v_cmp_lt_u32_e64 s[40:41], v242, v42                       // 000000009C98: D0C90028 000255F2
	v_add_u32_e32 v242, 64, v242                               // 000000009CA0: 69E5E4C0
	s_nop 0                                                    // 000000009CA4: BF800000
	v_cndmask_b32_e64 v138, v41, v138, s[40:41]                // 000000009CA8: D100008A 00A31529
	v_cmp_lt_u32_e64 s[40:41], v243, v42                       // 000000009CB0: D0C90028 000255F3
	v_add_u32_e32 v243, 64, v243                               // 000000009CB8: 69E7E6C0
	s_nop 0                                                    // 000000009CBC: BF800000
	v_cndmask_b32_e64 v139, v41, v139, s[40:41]                // 000000009CC0: D100008B 00A31729
	v_cmp_lt_u32_e64 s[40:41], v240, v42                       // 000000009CC8: D0C90028 000255F0
	v_add_u32_e32 v240, 64, v240                               // 000000009CD0: 69E1E0C0
	s_nop 0                                                    // 000000009CD4: BF800000
	v_cndmask_b32_e64 v140, v41, v140, s[40:41]                // 000000009CD8: D100008C 00A31929
	v_cmp_lt_u32_e64 s[40:41], v241, v42                       // 000000009CE0: D0C90028 000255F1
	v_add_u32_e32 v241, 64, v241                               // 000000009CE8: 69E3E2C0
	s_nop 0                                                    // 000000009CEC: BF800000
	v_cndmask_b32_e64 v141, v41, v141, s[40:41]                // 000000009CF0: D100008D 00A31B29
	v_cmp_lt_u32_e64 s[40:41], v242, v42                       // 000000009CF8: D0C90028 000255F2
	v_add_u32_e32 v242, 64, v242                               // 000000009D00: 69E5E4C0
	s_nop 0                                                    // 000000009D04: BF800000
	v_cndmask_b32_e64 v142, v41, v142, s[40:41]                // 000000009D08: D100008E 00A31D29
	v_cmp_lt_u32_e64 s[40:41], v243, v42                       // 000000009D10: D0C90028 000255F3
	v_add_u32_e32 v243, 64, v243                               // 000000009D18: 69E7E6C0
	s_nop 0                                                    // 000000009D1C: BF800000
	v_cndmask_b32_e64 v143, v41, v143, s[40:41]                // 000000009D20: D100008F 00A31F29
	v_mov_b32_e32 v62, v128                                    // 000000009D28: 7E7C0380
	v_max3_f32 v62, v128, v129, v62                            // 000000009D2C: D1D3003E 04FB0380
	v_max3_f32 v62, v130, v131, v62                            // 000000009D34: D1D3003E 04FB0782
	v_max3_f32 v62, v132, v133, v62                            // 000000009D3C: D1D3003E 04FB0B84
	v_max3_f32 v62, v134, v135, v62                            // 000000009D44: D1D3003E 04FB0F86
	v_max3_f32 v62, v136, v137, v62                            // 000000009D4C: D1D3003E 04FB1388
	v_max3_f32 v62, v138, v139, v62                            // 000000009D54: D1D3003E 04FB178A
	v_max3_f32 v62, v140, v141, v62                            // 000000009D5C: D1D3003E 04FB1B8C
	v_max3_f32 v62, v142, v143, v62                            // 000000009D64: D1D3003E 04FB1F8E
	ds_write_b32 v11, v62 offset:16896                         // 000000009D6C: D81A4200 00003E0B
	v_mul_u32_u24_dpp v41, v19, v68 row_newbcast:1 row_mask:0xf bank_mask:0xf// 000000009D74: 105288FA FF015113
	v_mul_u32_u24_dpp v42, v19, v68 row_newbcast:5 row_mask:0xf bank_mask:0xf// 000000009D7C: 105488FA FF015513
	v_mul_u32_u24_dpp v43, v19, v68 row_newbcast:9 row_mask:0xf bank_mask:0xf// 000000009D84: 105688FA FF015913
	v_mul_u32_u24_dpp v44, v19, v68 row_newbcast:13 row_mask:0xf bank_mask:0xf// 000000009D8C: 105888FA FF015D13
	v_add_u32_e32 v33, v41, v7                                 // 000000009D94: 68420F29
	v_add_u32_e32 v34, v42, v7                                 // 000000009D98: 68440F2A
	v_add_u32_e32 v35, v43, v7                                 // 000000009D9C: 68460F2B
	v_add_u32_e32 v36, v44, v7                                 // 000000009DA0: 68480F2C
	v_mul_f32_e32 v224, v63, v224                              // 000000009DA4: 0BC1C13F
	v_mul_f32_e32 v225, v63, v225                              // 000000009DA8: 0BC3C33F
	v_mul_f32_e32 v226, v63, v226                              // 000000009DAC: 0BC5C53F
	v_mul_f32_e32 v227, v63, v227                              // 000000009DB0: 0BC7C73F
	v_mul_f32_e32 v228, v63, v228                              // 000000009DB4: 0BC9C93F
	v_mul_f32_e32 v229, v63, v229                              // 000000009DB8: 0BCBCB3F
	v_mul_f32_e32 v230, v63, v230                              // 000000009DBC: 0BCDCD3F
	v_mul_f32_e32 v231, v63, v231                              // 000000009DC0: 0BCFCF3F
	s_waitcnt lgkmcnt(0)                                       // 000000009DC4: BF8CC07F
	s_barrier                                                  // 000000009DC8: BF8A0000
	ds_read_b32 v80, v10 offset:16896                          // 000000009DCC: D86C4200 5000000A
	ds_read_b32 v81, v10 offset:16960                          // 000000009DD4: D86C4240 5100000A
	ds_read_b32 v82, v10 offset:17024                          // 000000009DDC: D86C4280 5200000A
	ds_read_b32 v83, v10 offset:17088                          // 000000009DE4: D86C42C0 5300000A
	ds_read_b32 v84, v10 offset:17152                          // 000000009DEC: D86C4300 5400000A
	ds_read_b32 v85, v10 offset:17216                          // 000000009DF4: D86C4340 5500000A
	ds_read_b32 v86, v10 offset:17280                          // 000000009DFC: D86C4380 5600000A
	ds_read_b32 v87, v10 offset:17344                          // 000000009E04: D86C43C0 5700000A
	ds_read_b32 v88, v10 offset:17408                          // 000000009E0C: D86C4400 5800000A
	ds_read_b32 v89, v10 offset:17472                          // 000000009E14: D86C4440 5900000A
	ds_read_b32 v90, v10 offset:17536                          // 000000009E1C: D86C4480 5A00000A
	ds_read_b32 v91, v10 offset:17600                          // 000000009E24: D86C44C0 5B00000A
	ds_read_b32 v92, v10 offset:17664                          // 000000009E2C: D86C4500 5C00000A
	ds_read_b32 v93, v10 offset:17728                          // 000000009E34: D86C4540 5D00000A
	ds_read_b32 v94, v10 offset:17792                          // 000000009E3C: D86C4580 5E00000A
	ds_read_b32 v95, v10 offset:17856                          // 000000009E44: D86C45C0 5F00000A
	v_mul_f32_e32 v192, v58, v192                              // 000000009E4C: 0B81813A
	v_mul_f32_e32 v193, v58, v193                              // 000000009E50: 0B83833A
	v_mul_f32_e32 v194, v58, v194                              // 000000009E54: 0B85853A
	v_mul_f32_e32 v195, v58, v195                              // 000000009E58: 0B87873A
	v_mul_f32_e32 v196, v58, v196                              // 000000009E5C: 0B89893A
	v_mul_f32_e32 v197, v58, v197                              // 000000009E60: 0B8B8B3A
	v_mul_f32_e32 v198, v58, v198                              // 000000009E64: 0B8D8D3A
	v_mul_f32_e32 v199, v58, v199                              // 000000009E68: 0B8F8F3A
	s_waitcnt lgkmcnt(0)                                       // 000000009E6C: BF8CC07F
	v_max3_f32 v62, v80, v81, v62                              // 000000009E70: D1D3003E 04FAA350
	v_max3_f32 v62, v82, v83, v62                              // 000000009E78: D1D3003E 04FAA752
	v_max3_f32 v62, v84, v85, v62                              // 000000009E80: D1D3003E 04FAAB54
	v_max3_f32 v62, v86, v87, v62                              // 000000009E88: D1D3003E 04FAAF56
	v_max3_f32 v62, v88, v89, v62                              // 000000009E90: D1D3003E 04FAB358
	v_max3_f32 v62, v90, v91, v62                              // 000000009E98: D1D3003E 04FAB75A
	v_max3_f32 v62, v92, v93, v62                              // 000000009EA0: D1D3003E 04FABB5C
	v_max3_f32 v62, v94, v95, v62                              // 000000009EA8: D1D3003E 04FABF5E
	v_mov_b32_e32 v41, 0xff800000                              // 000000009EB0: 7E5202FF FF800000
	v_cmp_eq_u32_e64 s[40:41], v41, v14                        // 000000009EB8: D0CA0028 00021D29
	s_nop 1                                                    // 000000009EC0: BF800001
	v_max_f32_e32 v18, v62, v14                                // 000000009EC4: 16241D3E
	v_mul_f32_e32 v67, s64, v18                                // 000000009EC8: 0A862440
	v_fma_f32 v128, v128, s64, -v67                            // 000000009ECC: D1CB0080 850C8180
	v_fma_f32 v129, v129, s64, -v67                            // 000000009ED4: D1CB0081 850C8181
	v_fma_f32 v130, v130, s64, -v67                            // 000000009EDC: D1CB0082 850C8182
	v_fma_f32 v131, v131, s64, -v67                            // 000000009EE4: D1CB0083 850C8183
	v_fma_f32 v132, v132, s64, -v67                            // 000000009EEC: D1CB0084 850C8184
	v_fma_f32 v133, v133, s64, -v67                            // 000000009EF4: D1CB0085 850C8185
	v_fma_f32 v134, v134, s64, -v67                            // 000000009EFC: D1CB0086 850C8186
	v_fma_f32 v135, v135, s64, -v67                            // 000000009F04: D1CB0087 850C8187
	v_fma_f32 v136, v136, s64, -v67                            // 000000009F0C: D1CB0088 850C8188
	v_fma_f32 v137, v137, s64, -v67                            // 000000009F14: D1CB0089 850C8189
	v_fma_f32 v138, v138, s64, -v67                            // 000000009F1C: D1CB008A 850C818A
	v_fma_f32 v139, v139, s64, -v67                            // 000000009F24: D1CB008B 850C818B
	v_fma_f32 v140, v140, s64, -v67                            // 000000009F2C: D1CB008C 850C818C
	v_fma_f32 v141, v141, s64, -v67                            // 000000009F34: D1CB008D 850C818D
	v_fma_f32 v142, v142, s64, -v67                            // 000000009F3C: D1CB008E 850C818E
	v_fma_f32 v143, v143, s64, -v67                            // 000000009F44: D1CB008F 850C818F
	v_exp_f32_e32 v128, v128                                   // 000000009F4C: 7F004180
	v_exp_f32_e32 v129, v129                                   // 000000009F50: 7F024181
	v_exp_f32_e32 v130, v130                                   // 000000009F54: 7F044182
	v_exp_f32_e32 v131, v131                                   // 000000009F58: 7F064183
	v_exp_f32_e32 v132, v132                                   // 000000009F5C: 7F084184
	v_exp_f32_e32 v133, v133                                   // 000000009F60: 7F0A4185
	v_exp_f32_e32 v134, v134                                   // 000000009F64: 7F0C4186
	v_exp_f32_e32 v135, v135                                   // 000000009F68: 7F0E4187
	v_exp_f32_e32 v136, v136                                   // 000000009F6C: 7F104188
	v_exp_f32_e32 v137, v137                                   // 000000009F70: 7F124189
	v_exp_f32_e32 v138, v138                                   // 000000009F74: 7F14418A
	v_exp_f32_e32 v139, v139                                   // 000000009F78: 7F16418B
	v_exp_f32_e32 v140, v140                                   // 000000009F7C: 7F18418C
	v_exp_f32_e32 v141, v141                                   // 000000009F80: 7F1A418D
	v_exp_f32_e32 v142, v142                                   // 000000009F84: 7F1C418E
	v_exp_f32_e32 v143, v143                                   // 000000009F88: 7F1E418F
	v_mul_f32_dpp v240, v252, v128 quad_perm:[0,0,0,0] row_mask:0xf bank_mask:0xf// 000000009F8C: 0BE100FA FF0000FC
	v_mul_f32_dpp v241, v252, v129 quad_perm:[1,1,1,1] row_mask:0xf bank_mask:0xf// 000000009F94: 0BE302FA FF0055FC
	v_mul_f32_dpp v242, v252, v130 quad_perm:[2,2,2,2] row_mask:0xf bank_mask:0xf// 000000009F9C: 0BE504FA FF00AAFC
	v_mul_f32_dpp v243, v252, v131 quad_perm:[3,3,3,3] row_mask:0xf bank_mask:0xf// 000000009FA4: 0BE706FA FF00FFFC
	v_mul_f32_dpp v244, v253, v132 quad_perm:[0,0,0,0] row_mask:0xf bank_mask:0xf// 000000009FAC: 0BE908FA FF0000FD
	v_mul_f32_dpp v245, v253, v133 quad_perm:[1,1,1,1] row_mask:0xf bank_mask:0xf// 000000009FB4: 0BEB0AFA FF0055FD
	v_mul_f32_dpp v246, v253, v134 quad_perm:[2,2,2,2] row_mask:0xf bank_mask:0xf// 000000009FBC: 0BED0CFA FF00AAFD
	v_mul_f32_dpp v247, v253, v135 quad_perm:[3,3,3,3] row_mask:0xf bank_mask:0xf// 000000009FC4: 0BEF0EFA FF00FFFD
	v_mul_f32_dpp v248, v254, v136 quad_perm:[0,0,0,0] row_mask:0xf bank_mask:0xf// 000000009FCC: 0BF110FA FF0000FE
	v_mul_f32_dpp v249, v254, v137 quad_perm:[1,1,1,1] row_mask:0xf bank_mask:0xf// 000000009FD4: 0BF312FA FF0055FE
	v_mul_f32_dpp v250, v254, v138 quad_perm:[2,2,2,2] row_mask:0xf bank_mask:0xf// 000000009FDC: 0BF514FA FF00AAFE
	v_mul_f32_dpp v251, v254, v139 quad_perm:[3,3,3,3] row_mask:0xf bank_mask:0xf// 000000009FE4: 0BF716FA FF00FFFE
	v_mul_f32_dpp v252, v255, v140 quad_perm:[0,0,0,0] row_mask:0xf bank_mask:0xf// 000000009FEC: 0BF918FA FF0000FF
	v_mul_f32_dpp v253, v255, v141 quad_perm:[1,1,1,1] row_mask:0xf bank_mask:0xf// 000000009FF4: 0BFB1AFA FF0055FF
	v_mul_f32_dpp v254, v255, v142 quad_perm:[2,2,2,2] row_mask:0xf bank_mask:0xf// 000000009FFC: 0BFD1CFA FF00AAFF
	v_mul_f32_dpp v255, v255, v143 quad_perm:[3,3,3,3] row_mask:0xf bank_mask:0xf// 00000000A004: 0BFF1EFA FF00FFFF
	v_mov_b32_e32 v62, 0x358637bd                              // 00000000A00C: 7E7C02FF 358637BD
	v_max3_f32 v62, |v240|, |v241|, v62                        // 00000000A014: D1D3033E 04FBE3F0
	v_max3_f32 v62, |v242|, |v243|, v62                        // 00000000A01C: D1D3033E 04FBE7F2
	v_max3_f32 v62, |v244|, |v245|, v62                        // 00000000A024: D1D3033E 04FBEBF4
	v_max3_f32 v62, |v246|, |v247|, v62                        // 00000000A02C: D1D3033E 04FBEFF6
	v_max3_f32 v62, |v248|, |v249|, v62                        // 00000000A034: D1D3033E 04FBF3F8
	v_max3_f32 v62, |v250|, |v251|, v62                        // 00000000A03C: D1D3033E 04FBF7FA
	v_max3_f32 v62, |v252|, |v253|, v62                        // 00000000A044: D1D3033E 04FBFBFC
	v_max3_f32 v62, |v254|, |v255|, v62                        // 00000000A04C: D1D3033E 04FBFFFE
	ds_write_b32 v11, v62 offset:20992                         // 00000000A054: D81A5200 00003E0B
	v_sub_f32_e32 v63, v14, v18                                // 00000000A05C: 047E250E
	v_cndmask_b32_e64 v63, v63, 0, s[40:41]                    // 00000000A060: D100003F 00A1013F
	v_mov_b32_e32 v14, v18                                     // 00000000A068: 7E1C0312
	v_mul_f32_e32 v63, s64, v63                                // 00000000A06C: 0A7E7E40
	v_exp_f32_e32 v63, v63                                     // 00000000A070: 7E7E413F
	s_waitcnt lgkmcnt(0)                                       // 00000000A074: BF8CC07F
	s_barrier                                                  // 00000000A078: BF8A0000
	ds_read_b32 v80, v10 offset:20992                          // 00000000A07C: D86C5200 5000000A
	ds_read_b32 v81, v10 offset:21056                          // 00000000A084: D86C5240 5100000A
	ds_read_b32 v82, v10 offset:21120                          // 00000000A08C: D86C5280 5200000A
	ds_read_b32 v83, v10 offset:21184                          // 00000000A094: D86C52C0 5300000A
	ds_read_b32 v84, v10 offset:21248                          // 00000000A09C: D86C5300 5400000A
	ds_read_b32 v85, v10 offset:21312                          // 00000000A0A4: D86C5340 5500000A
	ds_read_b32 v86, v10 offset:21376                          // 00000000A0AC: D86C5380 5600000A
	ds_read_b32 v87, v10 offset:21440                          // 00000000A0B4: D86C53C0 5700000A
	ds_read_b32 v88, v10 offset:21504                          // 00000000A0BC: D86C5400 5800000A
	ds_read_b32 v89, v10 offset:21568                          // 00000000A0C4: D86C5440 5900000A
	ds_read_b32 v90, v10 offset:21632                          // 00000000A0CC: D86C5480 5A00000A
	ds_read_b32 v91, v10 offset:21696                          // 00000000A0D4: D86C54C0 5B00000A
	ds_read_b32 v92, v10 offset:21760                          // 00000000A0DC: D86C5500 5C00000A
	ds_read_b32 v93, v10 offset:21824                          // 00000000A0E4: D86C5540 5D00000A
	ds_read_b32 v94, v10 offset:21888                          // 00000000A0EC: D86C5580 5E00000A
	ds_read_b32 v95, v10 offset:21952                          // 00000000A0F4: D86C55C0 5F00000A
	v_mul_f32_e32 v47, v63, v47                                // 00000000A0FC: 0A5E5F3F
	v_mov_b32_e32 v18, v128                                    // 00000000A100: 7E240380
	v_add_f32_e32 v18, v129, v18                               // 00000000A104: 02242581
	v_add_f32_e32 v18, v130, v18                               // 00000000A108: 02242582
	v_add_f32_e32 v18, v131, v18                               // 00000000A10C: 02242583
	v_add_f32_e32 v18, v132, v18                               // 00000000A110: 02242584
	v_add_f32_e32 v18, v133, v18                               // 00000000A114: 02242585
	v_add_f32_e32 v18, v134, v18                               // 00000000A118: 02242586
	v_add_f32_e32 v18, v135, v18                               // 00000000A11C: 02242587
	v_add_f32_e32 v18, v136, v18                               // 00000000A120: 02242588
	v_add_f32_e32 v18, v137, v18                               // 00000000A124: 02242589
	v_add_f32_e32 v18, v138, v18                               // 00000000A128: 0224258A
	v_add_f32_e32 v18, v139, v18                               // 00000000A12C: 0224258B
	v_add_f32_e32 v18, v140, v18                               // 00000000A130: 0224258C
	v_add_f32_e32 v18, v141, v18                               // 00000000A134: 0224258D
	v_add_f32_e32 v18, v142, v18                               // 00000000A138: 0224258E
	v_add_f32_e32 v18, v143, v18                               // 00000000A13C: 0224258F
	v_add_f32_e32 v47, v18, v47                                // 00000000A140: 025E5F12
	s_waitcnt lgkmcnt(0)                                       // 00000000A144: BF8CC07F
	v_max3_f32 v62, |v80|, |v81|, v62                          // 00000000A148: D1D3033E 04FAA350
	v_max3_f32 v62, |v82|, |v83|, v62                          // 00000000A150: D1D3033E 04FAA752
	v_max3_f32 v62, |v84|, |v85|, v62                          // 00000000A158: D1D3033E 04FAAB54
	v_max3_f32 v62, |v86|, |v87|, v62                          // 00000000A160: D1D3033E 04FAAF56
	v_max3_f32 v62, |v88|, |v89|, v62                          // 00000000A168: D1D3033E 04FAB358
	v_max3_f32 v62, |v90|, |v91|, v62                          // 00000000A170: D1D3033E 04FAB75A
	v_max3_f32 v62, |v92|, |v93|, v62                          // 00000000A178: D1D3033E 04FABB5C
	v_max3_f32 v62, |v94|, |v95|, v62                          // 00000000A180: D1D3033E 04FABF5E
	s_nop 2                                                    // 00000000A188: BF800002
	v_rcp_f32_e32 v62, v62                                     // 00000000A18C: 7E7C453E
	s_nop 1                                                    // 00000000A190: BF800001
	v_mul_f32_e32 v62, 0x43e00000, v62                         // 00000000A194: 0A7C7CFF 43E00000
	v_mul_f32_e32 v128, v62, v240                              // 00000000A19C: 0B01E13E
	v_mul_f32_e32 v129, v62, v241                              // 00000000A1A0: 0B03E33E
	v_mul_f32_e32 v130, v62, v242                              // 00000000A1A4: 0B05E53E
	v_mul_f32_e32 v131, v62, v243                              // 00000000A1A8: 0B07E73E
	v_mul_f32_e32 v132, v62, v244                              // 00000000A1AC: 0B09E93E
	v_mul_f32_e32 v133, v62, v245                              // 00000000A1B0: 0B0BEB3E
	v_mul_f32_e32 v134, v62, v246                              // 00000000A1B4: 0B0DED3E
	v_mul_f32_e32 v135, v62, v247                              // 00000000A1B8: 0B0FEF3E
	v_mul_f32_e32 v136, v62, v248                              // 00000000A1BC: 0B11F13E
	v_mul_f32_e32 v137, v62, v249                              // 00000000A1C0: 0B13F33E
	v_mul_f32_e32 v138, v62, v250                              // 00000000A1C4: 0B15F53E
	v_mul_f32_e32 v139, v62, v251                              // 00000000A1C8: 0B17F73E
	v_mul_f32_e32 v140, v62, v252                              // 00000000A1CC: 0B19F93E
	v_mul_f32_e32 v141, v62, v253                              // 00000000A1D0: 0B1BFB3E
	v_mul_f32_e32 v142, v62, v254                              // 00000000A1D4: 0B1DFD3E
	v_mul_f32_e32 v143, v62, v255                              // 00000000A1D8: 0B1FFF3E
	v_cvt_pk_fp8_f32 v128, v128, v129                          // 00000000A1DC: D2A20080 00030380
	v_cvt_pk_fp8_f32 v128, v130, v131 op_sel:[0,0,1]           // 00000000A1E4: D2A24080 00030782
	v_cvt_pk_fp8_f32 v129, v132, v133                          // 00000000A1EC: D2A20081 00030B84
	v_cvt_pk_fp8_f32 v129, v134, v135 op_sel:[0,0,1]           // 00000000A1F4: D2A24081 00030F86
	v_cvt_pk_fp8_f32 v130, v136, v137                          // 00000000A1FC: D2A20082 00031388
	v_cvt_pk_fp8_f32 v130, v138, v139 op_sel:[0,0,1]           // 00000000A204: D2A24082 0003178A
	v_cvt_pk_fp8_f32 v131, v140, v141                          // 00000000A20C: D2A20083 00031B8C
	v_cvt_pk_fp8_f32 v131, v142, v143 op_sel:[0,0,1]           // 00000000A214: D2A24083 00031F8E
	ds_write_b32 v13, v128 offset:25088                        // 00000000A21C: D81A6200 0000800D
	ds_write_b32 v13, v129 offset:26112                        // 00000000A224: D81A6600 0000810D
	ds_write_b32 v13, v130 offset:27136                        // 00000000A22C: D81A6A00 0000820D
	ds_write_b32 v13, v131 offset:28160                        // 00000000A234: D81A6E00 0000830D
	v_add_f32_e32 v224, v224, v192                             // 00000000A23C: 03C181E0
	v_add_f32_e32 v225, v225, v193                             // 00000000A240: 03C383E1
	v_add_f32_e32 v226, v226, v194                             // 00000000A244: 03C585E2
	v_add_f32_e32 v227, v227, v195                             // 00000000A248: 03C787E3
	v_add_f32_e32 v228, v228, v196                             // 00000000A24C: 03C989E4
	v_add_f32_e32 v229, v229, v197                             // 00000000A250: 03CB8BE5
	v_add_f32_e32 v230, v230, v198                             // 00000000A254: 03CD8DE6
	v_add_f32_e32 v231, v231, v199                             // 00000000A258: 03CF8FE7
	v_rcp_f32_e32 v58, v62                                     // 00000000A25C: 7E74453E
	s_waitcnt lgkmcnt(0)                                       // 00000000A260: BF8CC07F
	s_barrier                                                  // 00000000A264: BF8A0000
	ds_read_b64 v[128:129], v12 offset:25088                   // 00000000A268: D8EC6200 8000000C
	ds_read_b64 v[130:131], v12 offset:25216                   // 00000000A270: D8EC6280 8200000C
	ds_read_b64 v[132:133], v12 offset:26112                   // 00000000A278: D8EC6600 8400000C
	ds_read_b64 v[134:135], v12 offset:26240                   // 00000000A280: D8EC6680 8600000C
	ds_read_b64 v[136:137], v12 offset:27136                   // 00000000A288: D8EC6A00 8800000C
	ds_read_b64 v[138:139], v12 offset:27264                   // 00000000A290: D8EC6A80 8A00000C
	ds_read_b64 v[140:141], v12 offset:28160                   // 00000000A298: D8EC6E00 8C00000C
	ds_read_b64 v[142:143], v12 offset:28288                   // 00000000A2A0: D8EC6E80 8E00000C
	s_waitcnt vmcnt(0)                                         // 00000000A2A8: BF8C0F70
	s_barrier                                                  // 00000000A2AC: BF8A0000
	s_waitcnt lgkmcnt(7)                                       // 00000000A2B0: BF8CC77F
	v_mfma_f32_16x16x32_fp8_fp8 v[192:195], a[96:97], v[128:129], 0// 00000000A2B4: D3F300C0 0A030160
	s_waitcnt lgkmcnt(6)                                       // 00000000A2BC: BF8CC67F
	v_mfma_f32_16x16x32_fp8_fp8 v[192:195], a[98:99], v[130:131], v[192:195]// 00000000A2C0: D3F300C0 0F030562
	s_waitcnt lgkmcnt(5)                                       // 00000000A2C8: BF8CC57F
	v_mfma_f32_16x16x32_fp8_fp8 v[192:195], a[100:101], v[132:133], v[192:195]// 00000000A2CC: D3F300C0 0F030964
	s_waitcnt lgkmcnt(4)                                       // 00000000A2D4: BF8CC47F
	v_mfma_f32_16x16x32_fp8_fp8 v[192:195], a[102:103], v[134:135], v[192:195]// 00000000A2D8: D3F300C0 0F030D66
	s_waitcnt lgkmcnt(3)                                       // 00000000A2E0: BF8CC37F
	v_mfma_f32_16x16x32_fp8_fp8 v[192:195], a[104:105], v[136:137], v[192:195]// 00000000A2E4: D3F300C0 0F031168
	s_waitcnt lgkmcnt(2)                                       // 00000000A2EC: BF8CC27F
	v_mfma_f32_16x16x32_fp8_fp8 v[192:195], a[106:107], v[138:139], v[192:195]// 00000000A2F0: D3F300C0 0F03156A
	s_waitcnt lgkmcnt(1)                                       // 00000000A2F8: BF8CC17F
	v_mfma_f32_16x16x32_fp8_fp8 v[192:195], a[108:109], v[140:141], v[192:195]// 00000000A2FC: D3F300C0 0F03196C
	s_waitcnt lgkmcnt(0)                                       // 00000000A304: BF8CC07F
	v_mfma_f32_16x16x32_fp8_fp8 v[192:195], a[110:111], v[142:143], v[192:195]// 00000000A308: D3F300C0 0F031D6E
	v_mfma_f32_16x16x32_fp8_fp8 v[196:199], a[112:113], v[128:129], 0// 00000000A310: D3F300C4 0A030170
	v_mfma_f32_16x16x32_fp8_fp8 v[196:199], a[114:115], v[130:131], v[196:199]// 00000000A318: D3F300C4 0F130572
	v_mfma_f32_16x16x32_fp8_fp8 v[196:199], a[116:117], v[132:133], v[196:199]// 00000000A320: D3F300C4 0F130974
	v_mfma_f32_16x16x32_fp8_fp8 v[196:199], a[118:119], v[134:135], v[196:199]// 00000000A328: D3F300C4 0F130D76
	v_mfma_f32_16x16x32_fp8_fp8 v[196:199], a[120:121], v[136:137], v[196:199]// 00000000A330: D3F300C4 0F131178
	v_mfma_f32_16x16x32_fp8_fp8 v[196:199], a[122:123], v[138:139], v[196:199]// 00000000A338: D3F300C4 0F13157A
	v_mfma_f32_16x16x32_fp8_fp8 v[196:199], a[124:125], v[140:141], v[196:199]// 00000000A340: D3F300C4 0F13197C
	v_mfma_f32_16x16x32_fp8_fp8 v[196:199], a[126:127], v[142:143], v[196:199]// 00000000A348: D3F300C4 0F131D7E
	s_nop 4                                                    // 00000000A350: BF800004
	s_branch label_2056                                        // 00000000A354: BF820000

000000000000a358 <label_2056>:
	v_mul_f32_e32 v224, v63, v224                              // 00000000A358: 0BC1C13F
	v_mul_f32_e32 v225, v63, v225                              // 00000000A35C: 0BC3C33F
	v_mul_f32_e32 v226, v63, v226                              // 00000000A360: 0BC5C53F
	v_mul_f32_e32 v227, v63, v227                              // 00000000A364: 0BC7C73F
	v_mul_f32_e32 v228, v63, v228                              // 00000000A368: 0BC9C93F
	v_mul_f32_e32 v229, v63, v229                              // 00000000A36C: 0BCBCB3F
	v_mul_f32_e32 v230, v63, v230                              // 00000000A370: 0BCDCD3F
	v_mul_f32_e32 v231, v63, v231                              // 00000000A374: 0BCFCF3F
	v_mul_f32_e32 v192, v58, v192                              // 00000000A378: 0B81813A
	v_mul_f32_e32 v193, v58, v193                              // 00000000A37C: 0B83833A
	v_mul_f32_e32 v194, v58, v194                              // 00000000A380: 0B85853A
	v_mul_f32_e32 v195, v58, v195                              // 00000000A384: 0B87873A
	v_mul_f32_e32 v196, v58, v196                              // 00000000A388: 0B89893A
	v_mul_f32_e32 v197, v58, v197                              // 00000000A38C: 0B8B8B3A
	v_mul_f32_e32 v198, v58, v198                              // 00000000A390: 0B8D8D3A
	v_mul_f32_e32 v199, v58, v199                              // 00000000A394: 0B8F8F3A
	v_add_f32_e32 v224, v224, v192                             // 00000000A398: 03C181E0
	v_add_f32_e32 v225, v225, v193                             // 00000000A39C: 03C383E1
	v_add_f32_e32 v226, v226, v194                             // 00000000A3A0: 03C585E2
	v_add_f32_e32 v227, v227, v195                             // 00000000A3A4: 03C787E3
	v_add_f32_e32 v228, v228, v196                             // 00000000A3A8: 03C989E4
	v_add_f32_e32 v229, v229, v197                             // 00000000A3AC: 03CB8BE5
	v_add_f32_e32 v230, v230, v198                             // 00000000A3B0: 03CD8DE6
	v_add_f32_e32 v231, v231, v199                             // 00000000A3B4: 03CF8FE7
	ds_write_b32 v11, v47 offset:16896                         // 00000000A3B8: D81A4200 00002F0B
	s_waitcnt lgkmcnt(0)                                       // 00000000A3C0: BF8CC07F
	s_barrier                                                  // 00000000A3C4: BF8A0000
	ds_read_b32 v80, v10 offset:16896                          // 00000000A3C8: D86C4200 5000000A
	ds_read_b32 v81, v10 offset:16960                          // 00000000A3D0: D86C4240 5100000A
	ds_read_b32 v82, v10 offset:17024                          // 00000000A3D8: D86C4280 5200000A
	ds_read_b32 v83, v10 offset:17088                          // 00000000A3E0: D86C42C0 5300000A
	ds_read_b32 v84, v10 offset:17152                          // 00000000A3E8: D86C4300 5400000A
	ds_read_b32 v85, v10 offset:17216                          // 00000000A3F0: D86C4340 5500000A
	ds_read_b32 v86, v10 offset:17280                          // 00000000A3F8: D86C4380 5600000A
	ds_read_b32 v87, v10 offset:17344                          // 00000000A400: D86C43C0 5700000A
	ds_read_b32 v88, v10 offset:17408                          // 00000000A408: D86C4400 5800000A
	ds_read_b32 v89, v10 offset:17472                          // 00000000A410: D86C4440 5900000A
	ds_read_b32 v90, v10 offset:17536                          // 00000000A418: D86C4480 5A00000A
	ds_read_b32 v91, v10 offset:17600                          // 00000000A420: D86C44C0 5B00000A
	ds_read_b32 v92, v10 offset:17664                          // 00000000A428: D86C4500 5C00000A
	ds_read_b32 v93, v10 offset:17728                          // 00000000A430: D86C4540 5D00000A
	ds_read_b32 v94, v10 offset:17792                          // 00000000A438: D86C4580 5E00000A
	ds_read_b32 v95, v10 offset:17856                          // 00000000A440: D86C45C0 5F00000A
	s_waitcnt lgkmcnt(0)                                       // 00000000A448: BF8CC07F
	v_mov_b32_e32 v47, 0                                       // 00000000A44C: 7E5E0280
	v_add_f32_e32 v47, v80, v47                                // 00000000A450: 025E5F50
	v_add_f32_e32 v47, v81, v47                                // 00000000A454: 025E5F51
	v_add_f32_e32 v47, v82, v47                                // 00000000A458: 025E5F52
	v_add_f32_e32 v47, v83, v47                                // 00000000A45C: 025E5F53
	v_add_f32_e32 v47, v84, v47                                // 00000000A460: 025E5F54
	v_add_f32_e32 v47, v85, v47                                // 00000000A464: 025E5F55
	v_add_f32_e32 v47, v86, v47                                // 00000000A468: 025E5F56
	v_add_f32_e32 v47, v87, v47                                // 00000000A46C: 025E5F57
	v_add_f32_e32 v47, v88, v47                                // 00000000A470: 025E5F58
	v_add_f32_e32 v47, v89, v47                                // 00000000A474: 025E5F59
	v_add_f32_e32 v47, v90, v47                                // 00000000A478: 025E5F5A
	v_add_f32_e32 v47, v91, v47                                // 00000000A47C: 025E5F5B
	v_add_f32_e32 v47, v92, v47                                // 00000000A480: 025E5F5C
	v_add_f32_e32 v47, v93, v47                                // 00000000A484: 025E5F5D
	v_add_f32_e32 v47, v94, v47                                // 00000000A488: 025E5F5E
	v_add_f32_e32 v47, v95, v47                                // 00000000A48C: 025E5F5F
	s_nop 1                                                    // 00000000A490: BF800001
	v_rcp_f32_e32 v47, v47                                     // 00000000A494: 7E5E452F
	s_nop 1                                                    // 00000000A498: BF800001
	v_mul_f32_e32 v224, v47, v224                              // 00000000A49C: 0BC1C12F
	v_mul_f32_e32 v225, v47, v225                              // 00000000A4A0: 0BC3C32F
	v_mul_f32_e32 v226, v47, v226                              // 00000000A4A4: 0BC5C52F
	v_mul_f32_e32 v227, v47, v227                              // 00000000A4A8: 0BC7C72F
	v_mul_f32_e32 v228, v47, v228                              // 00000000A4AC: 0BC9C92F
	v_mul_f32_e32 v229, v47, v229                              // 00000000A4B0: 0BCBCB2F
	v_mul_f32_e32 v230, v47, v230                              // 00000000A4B4: 0BCDCD2F
	v_mul_f32_e32 v231, v47, v231                              // 00000000A4B8: 0BCFCF2F
	v_cmp_u_f32_e64 s[40:41], v224, v224                       // 00000000A4BC: D0480028 0003C1E0
	v_add3_u32 v21, v224, v24, 1                               // 00000000A4C4: D1FF0015 020631E0
	v_cndmask_b32_e64 v41, v21, v23, s[40:41]                  // 00000000A4CC: D1000029 00A22F15
	v_cmp_u_f32_e64 s[40:41], v225, v225                       // 00000000A4D4: D0480028 0003C3E1
	v_add3_u32 v21, v225, v24, 1                               // 00000000A4DC: D1FF0015 020631E1
	v_cndmask_b32_e64 v42, v21, v23, s[40:41]                  // 00000000A4E4: D100002A 00A22F15
	v_perm_b32 v224, v42, v41, s52                             // 00000000A4EC: D1ED00E0 00D2532A
	v_cmp_u_f32_e64 s[40:41], v226, v226                       // 00000000A4F4: D0480028 0003C5E2
	v_add3_u32 v21, v226, v24, 1                               // 00000000A4FC: D1FF0015 020631E2
	v_cndmask_b32_e64 v41, v21, v23, s[40:41]                  // 00000000A504: D1000029 00A22F15
	v_cmp_u_f32_e64 s[40:41], v227, v227                       // 00000000A50C: D0480028 0003C7E3
	v_add3_u32 v21, v227, v24, 1                               // 00000000A514: D1FF0015 020631E3
	v_cndmask_b32_e64 v42, v21, v23, s[40:41]                  // 00000000A51C: D100002A 00A22F15
	v_perm_b32 v225, v42, v41, s52                             // 00000000A524: D1ED00E1 00D2532A
	v_cmp_u_f32_e64 s[40:41], v228, v228                       // 00000000A52C: D0480028 0003C9E4
	v_add3_u32 v21, v228, v24, 1                               // 00000000A534: D1FF0015 020631E4
	v_cndmask_b32_e64 v41, v21, v23, s[40:41]                  // 00000000A53C: D1000029 00A22F15
	v_cmp_u_f32_e64 s[40:41], v229, v229                       // 00000000A544: D0480028 0003CBE5
	v_add3_u32 v21, v229, v24, 1                               // 00000000A54C: D1FF0015 020631E5
	v_cndmask_b32_e64 v42, v21, v23, s[40:41]                  // 00000000A554: D100002A 00A22F15
	v_perm_b32 v226, v42, v41, s52                             // 00000000A55C: D1ED00E2 00D2532A
	v_cmp_u_f32_e64 s[40:41], v230, v230                       // 00000000A564: D0480028 0003CDE6
	v_add3_u32 v21, v230, v24, 1                               // 00000000A56C: D1FF0015 020631E6
	v_cndmask_b32_e64 v41, v21, v23, s[40:41]                  // 00000000A574: D1000029 00A22F15
	v_cmp_u_f32_e64 s[40:41], v231, v231                       // 00000000A57C: D0480028 0003CFE7
	v_add3_u32 v21, v231, v24, 1                               // 00000000A584: D1FF0015 020631E7
	v_cndmask_b32_e64 v42, v21, v23, s[40:41]                  // 00000000A58C: D100002A 00A22F15
	v_perm_b32 v227, v42, v41, s52                             // 00000000A594: D1ED00E3 00D2532A
	s_nop 1                                                    // 00000000A59C: BF800001
	v_lshrrev_b32_e32 v41, 4, v0                               // 00000000A5A0: 20520084
	v_mul_i32_i24_e32 v45, 34, v41                             // 00000000A5A4: 0C5A52A2
	v_and_b32_e32 v41, 15, v0                                  // 00000000A5A8: 2652008F
	v_mul_i32_i24_e32 v42, 2, v41                              // 00000000A5AC: 0C545282
	v_add_u32_e32 v45, v42, v45                                // 00000000A5B0: 685A5B2A
	s_mul_i32 s60, s7, 0x88                                    // 00000000A5B4: 923CFF07 00000088
	v_add_u32_e32 v45, s60, v45                                // 00000000A5BC: 685A5A3C
	v_lshlrev_b32_e32 v45, 2, v45                              // 00000000A5C0: 245A5A82
	ds_write_b64 v45, v[224:225] offset:41472                  // 00000000A5C4: D89AA200 0000E02D
	ds_write_b64 v45, v[226:227] offset:43648                  // 00000000A5CC: D89AAA80 0000E22D
	v_lshrrev_b32_e32 v41, 1, v0                               // 00000000A5D4: 20520081
	v_mul_i32_i24_e32 v45, 34, v41                             // 00000000A5D8: 0C5A52A2
	v_and_b32_e32 v42, 1, v0                                   // 00000000A5DC: 26540081
	v_add_u32_e32 v45, v42, v45                                // 00000000A5E0: 685A5B2A
	s_mul_i32 s60, s7, 2                                       // 00000000A5E4: 923C8207
	v_add_u32_e32 v45, s60, v45                                // 00000000A5E8: 685A5A3C
	v_lshlrev_b32_e32 v45, 2, v45                              // 00000000A5EC: 245A5A82
	s_waitcnt lgkmcnt(0)                                       // 00000000A5F0: BF8CC07F
	s_barrier                                                  // 00000000A5F4: BF8A0000
	ds_read_b32 v224, v45 offset:41472                         // 00000000A5F8: D86CA200 E000002D
	ds_read_b32 v225, v45 offset:41504                         // 00000000A600: D86CA220 E100002D
	ds_read_b32 v226, v45 offset:41536                         // 00000000A608: D86CA240 E200002D
	ds_read_b32 v227, v45 offset:41568                         // 00000000A610: D86CA260 E300002D
	s_mul_i32 s60, s7, 0x100                                   // 00000000A618: 923CFF07 00000100
	v_lshlrev_b32_e32 v41, 2, v0                               // 00000000A620: 24520082
	v_add_u32_e64 v41, v41, s60                                // 00000000A624: D1340029 00007929
	s_waitcnt lgkmcnt(0)                                       // 00000000A62C: BF8CC07F
	buffer_store_dword v224, v41, s[8:11], 0 offen             // 00000000A630: E0701000 8002E029
	buffer_store_dword v225, v41, s[8:11], 0 offen offset:1024 // 00000000A638: E0701400 8002E129
	s_add_u32 s8, s75, s8                                      // 00000000A640: 8008084B
	s_addc_u32 s9, 0, s9                                       // 00000000A644: 82090980
	buffer_store_dword v226, v41, s[8:11], 0 offen             // 00000000A648: E0701000 8002E229
	buffer_store_dword v227, v41, s[8:11], 0 offen offset:1024 // 00000000A650: E0701400 8002E329
	s_add_u32 s8, s75, s8                                      // 00000000A658: 8008084B
	s_addc_u32 s9, 0, s9                                       // 00000000A65C: 82090980
	s_branch label_467A                                        // 00000000A660: BF822561

000000000000a664 <label_2119>:
	s_mov_b32 s88, 0xa0                                        // 00000000A664: BED800FF 000000A0

000000000000a66c <label_211B>:
	s_mul_i32 s60, s3, s65                                     // 00000000A66C: 923C4103
	s_mul_i32 s60, s60, 4                                      // 00000000A670: 923C843C
	s_add_u32 s24, s60, s24                                    // 00000000A674: 8018183C
	s_addc_u32 s25, 0, s25                                     // 00000000A678: 82191980
	s_sub_u32 s89, s72, s86                                    // 00000000A67C: 80D95648
	s_mov_b32 s90, 0xff                                        // 00000000A680: BEDA00FF 000000FF
	s_mov_b32 s91, 0x100                                       // 00000000A688: BEDB00FF 00000100
	s_mov_b32 s56, 64                                          // 00000000A690: BEB800C0
	s_add_u32 s73, s72, 15                                     // 00000000A694: 80498F48
	s_lshr_b32 s73, s73, 4                                     // 00000000A698: 8F498449
	s_mul_i32 s60, s73, 4                                      // 00000000A69C: 923C8449
	s_mov_b32 s26, s60                                         // 00000000A6A0: BE9A003C
	v_and_b32_e32 v42, 3, v0                                   // 00000000A6A4: 26540083
	v_cmp_eq_u32_e64 s[60:61], 0, v42                          // 00000000A6A8: D0CA003C 00025480
	v_and_b32_e32 v41, 12, v0                                  // 00000000A6B0: 2652008C
	v_add_u32_e32 v1, s7, v41                                  // 00000000A6B4: 68025207
	v_cndmask_b32_e64 v1, 0, v1, s[60:61]                      // 00000000A6B8: D1000001 00F20280
	v_and_b32_e32 v42, 3, v0                                   // 00000000A6C0: 26540083
	v_cmp_eq_u32_e64 s[60:61], 1, v42                          // 00000000A6C4: D0CA003C 00025481
	v_lshrrev_b32_e32 v41, 4, v0                               // 00000000A6CC: 20520084
	v_and_b32_e32 v42, 12, v0                                  // 00000000A6D0: 2654008C
	v_add_u32_e32 v41, v42, v41                                // 00000000A6D4: 6852532A
	v_cndmask_b32_e64 v41, 0, v41, s[60:61]                    // 00000000A6D8: D1000029 00F25280
	v_add_u32_e32 v1, v1, v41                                  // 00000000A6E0: 68025301
	v_lshlrev_b32_e32 v1, 2, v1                                // 00000000A6E4: 24020282
	buffer_load_dword v19, v1, s[24:27], 0 offen               // 00000000A6E8: E0501000 80061301
	v_add_u32_e32 v1, s56, v1                                  // 00000000A6F0: 68020238
	buffer_load_dword v20, v1, s[24:27], 0 offen               // 00000000A6F4: E0501000 80061401
	s_cmp_le_u32 s73, 32                                       // 00000000A6FC: BF0BA049
	s_cselect_b32 s56, 0, s56                                  // 00000000A700: 85383880
	s_mul_i32 s60, s2, s67                                     // 00000000A704: 923C4302
	s_mul_i32 s61, s84, s74                                    // 00000000A708: 923D4A54
	s_add_u32 s60, s60, s61                                    // 00000000A70C: 803C3D3C
	s_add_u32 s12, s60, s12                                    // 00000000A710: 800C0C3C
	s_addc_u32 s13, 0, s13                                     // 00000000A714: 820D0D80
	s_mul_i32 s60, s7, 0x108                                   // 00000000A718: 923CFF07 00000108
	s_add_u32 m0, 0, s60                                       // 00000000A720: 807C3C80
	s_mul_i32 s60, s7, 0x100                                   // 00000000A724: 923CFF07 00000100
	v_lshlrev_b32_e32 v41, 2, v0                               // 00000000A72C: 24520082
	v_add_u32_e64 v41, v41, s60                                // 00000000A730: D1340029 00007929
	v_add_u32_e32 v42, 0x400, v41                              // 00000000A738: 685452FF 00000400
	buffer_load_dword v41, s[12:15], 0 offen lds               // 00000000A740: E0511000 80030029
	s_mul_i32 s60, 4, 0x108                                    // 00000000A748: 923CFF84 00000108
	s_add_u32 m0, m0, s60                                      // 00000000A750: 807C3C7C
	buffer_load_dword v42, s[12:15], 0 offen lds               // 00000000A754: E0511000 8003002A
	s_mul_i32 s60, 4, 0x108                                    // 00000000A75C: 923CFF84 00000108
	s_add_u32 m0, m0, s60                                      // 00000000A764: 807C3C7C
	s_add_u32 s12, s74, s12                                    // 00000000A768: 800C0C4A
	s_addc_u32 s13, 0, s13                                     // 00000000A76C: 820D0D80
	buffer_load_dword v41, s[12:15], 0 offen lds               // 00000000A770: E0511000 80030029
	s_mul_i32 s60, 4, 0x108                                    // 00000000A778: 923CFF84 00000108
	s_add_u32 m0, m0, s60                                      // 00000000A780: 807C3C7C
	buffer_load_dword v42, s[12:15], 0 offen lds               // 00000000A784: E0511000 8003002A
	s_mul_i32 s60, 4, 0x108                                    // 00000000A78C: 923CFF84 00000108
	s_add_u32 m0, m0, s60                                      // 00000000A794: 807C3C7C
	s_add_u32 s12, s74, s12                                    // 00000000A798: 800C0C4A
	s_addc_u32 s13, 0, s13                                     // 00000000A79C: 820D0D80
	buffer_load_dword v41, s[12:15], 0 offen lds               // 00000000A7A0: E0511000 80030029
	s_mul_i32 s60, 4, 0x108                                    // 00000000A7A8: 923CFF84 00000108
	s_add_u32 m0, m0, s60                                      // 00000000A7B0: 807C3C7C
	buffer_load_dword v42, s[12:15], 0 offen lds               // 00000000A7B4: E0511000 8003002A
	s_mul_i32 s60, 4, 0x108                                    // 00000000A7BC: 923CFF84 00000108
	s_add_u32 m0, m0, s60                                      // 00000000A7C4: 807C3C7C
	s_add_u32 s12, s74, s12                                    // 00000000A7C8: 800C0C4A
	s_addc_u32 s13, 0, s13                                     // 00000000A7CC: 820D0D80
	buffer_load_dword v41, s[12:15], 0 offen lds               // 00000000A7D0: E0511000 80030029
	s_mul_i32 s60, 4, 0x108                                    // 00000000A7D8: 923CFF84 00000108
	s_add_u32 m0, m0, s60                                      // 00000000A7E0: 807C3C7C
	buffer_load_dword v42, s[12:15], 0 offen lds               // 00000000A7E4: E0511000 8003002A
	s_mul_i32 s60, 4, 0x108                                    // 00000000A7EC: 923CFF84 00000108
	s_add_u32 m0, m0, s60                                      // 00000000A7F4: 807C3C7C
	s_add_u32 s12, s74, s12                                    // 00000000A7F8: 800C0C4A
	s_addc_u32 s13, 0, s13                                     // 00000000A7FC: 820D0D80
	v_lshrrev_b32_e32 v41, 4, v0                               // 00000000A800: 20520084
	v_lshlrev_b32_e32 v41, 2, v41                              // 00000000A804: 24525282
	v_and_b32_e32 v42, 3, v0                                   // 00000000A808: 26540083
	v_add_u32_e32 v41, v42, v41                                // 00000000A80C: 6852532A
	v_lshlrev_b32_e32 v74, 2, v41                              // 00000000A810: 24945282
	v_mov_b32_e32 v75, v74                                     // 00000000A814: 7E96034A
	s_mul_i32 s60, s2, 64                                      // 00000000A818: 923CC002
	s_add_u32 s32, s60, s32                                    // 00000000A81C: 8020203C
	s_addc_u32 s33, 0, s33                                     // 00000000A820: 82212180
	s_add_u32 s36, s60, s36                                    // 00000000A824: 8024243C
	s_addc_u32 s37, 0, s37                                     // 00000000A828: 82252580
	s_mul_i32 s60, s2, s76                                     // 00000000A82C: 923C4C02
	s_mul_i32 s61, s84, s75                                    // 00000000A830: 923D4B54
	s_add_u32 s60, s60, s61                                    // 00000000A834: 803C3D3C
	s_add_u32 s8, s60, s8                                      // 00000000A838: 8008083C
	s_addc_u32 s9, 0, s9                                       // 00000000A83C: 82090980
	s_mov_b32 s70, 0                                           // 00000000A840: BEC60080
	s_and_b32 s71, s72, 0xffffff00                             // 00000000A844: 8647FF48 FFFFFF00
	s_mov_b32 s42, 0xff00ff00                                  // 00000000A84C: BEAA00FF FF00FF00
	s_mov_b32 s43, 0xff00ff00                                  // 00000000A854: BEAB00FF FF00FF00
	s_mov_b32 s44, 0xf0f0f0f0                                  // 00000000A85C: BEAC00FF F0F0F0F0
	s_mov_b32 s45, 0xf0f0f0f0                                  // 00000000A864: BEAD00FF F0F0F0F0
	s_mov_b32 s78, 0xff00ff                                    // 00000000A86C: BECE00FF 00FF00FF
	s_mov_b32 s79, 0xff00ff                                    // 00000000A874: BECF00FF 00FF00FF
	v_mul_i32_i24_e64 v78, 64, s66                             // 00000000A87C: D106004E 000084C0
	v_mov_b32_e32 v68, s68                                     // 00000000A884: 7E880244
	s_mov_b32 s52, 0x7060302                                   // 00000000A888: BEB400FF 07060302
	s_mov_b32 s53, 0x400                                       // 00000000A890: BEB500FF 00000400
	s_mov_b32 s54, 0x40100                                     // 00000000A898: BEB600FF 00040100
	s_mov_b32 s55, 0x4020100                                   // 00000000A8A0: BEB700FF 04020100
	s_mov_b32 s6, 0x3fb8aa3b                                   // 00000000A8A8: BE8600FF 3FB8AA3B
	v_mov_b32_e32 v14, 0xff800000                              // 00000000A8B0: 7E1C02FF FF800000
	v_mov_b32_e32 v15, 0xff800000                              // 00000000A8B8: 7E1E02FF FF800000
	v_mov_b32_e32 v63, 0                                       // 00000000A8C0: 7E7E0280
	v_mov_b32_e32 v64, 0                                       // 00000000A8C4: 7E800280
	v_mov_b32_e32 v47, 0                                       // 00000000A8C8: 7E5E0280
	v_mov_b32_e32 v48, 0                                       // 00000000A8CC: 7E600280
	v_mov_b32_e32 v58, 0                                       // 00000000A8D0: 7E740280
	v_mov_b32_e32 v59, 0                                       // 00000000A8D4: 7E760280
	v_mov_b32_e32 v22, 0xffff0000                              // 00000000A8D8: 7E2C02FF FFFF0000
	v_mov_b32_e32 v23, 0x7fff0000                              // 00000000A8E0: 7E2E02FF 7FFF0000
	v_mov_b32_e32 v24, 0x7fff                                  // 00000000A8E8: 7E3002FF 00007FFF
	v_add_u32_e32 v1, s56, v1                                  // 00000000A8F0: 68020238
	v_and_b32_e32 v10, 15, v0                                  // 00000000A8F4: 2614008F
	v_lshlrev_b32_e32 v10, 2, v10                              // 00000000A8F8: 24141482
	v_lshlrev_b32_e32 v11, 2, v0                               // 00000000A8FC: 24160082
	s_mul_i32 s60, 0x100, s7                                   // 00000000A900: 923C07FF 00000100
	v_add_u32_e32 v11, s60, v11                                // 00000000A908: 6816163C
	v_lshrrev_b32_e32 v41, 4, v0                               // 00000000A90C: 20520084
	v_lshlrev_b32_e32 v42, 6, v41                              // 00000000A910: 24545286
	v_and_b32_e32 v41, 15, v0                                  // 00000000A914: 2652008F
	v_lshlrev_b32_e32 v41, 1, v41                              // 00000000A918: 24525281
	v_add_u32_e32 v42, v41, v42                                // 00000000A91C: 68545529
	v_lshlrev_b32_e32 v12, 2, v42                              // 00000000A920: 24185482
	v_lshrrev_b32_e32 v41, 5, v0                               // 00000000A924: 20520085
	v_lshlrev_b32_e32 v42, 5, v41                              // 00000000A928: 24545285
	v_and_b32_e32 v41, 31, v0                                  // 00000000A92C: 2652009F
	v_lshrrev_b32_e32 v43, 4, v41                              // 00000000A930: 20565284
	v_add_u32_e32 v42, v43, v42                                // 00000000A934: 6854552B
	v_and_b32_e32 v41, 15, v0                                  // 00000000A938: 2652008F
	v_lshlrev_b32_e32 v41, 1, v41                              // 00000000A93C: 24525281
	v_add_u32_e32 v42, v41, v42                                // 00000000A940: 68545529
	v_lshlrev_b32_e32 v41, 2, v42                              // 00000000A944: 24525482
	s_mul_i32 s60, 0x100, s7                                   // 00000000A948: 923C07FF 00000100
	v_add_u32_e64 v13, v41, s60                                // 00000000A950: D134000D 00007929
	v_lshlrev_b32_e32 v6, 4, v0                                // 00000000A958: 240C0084
	s_mul_i32 s60, s2, s69                                     // 00000000A95C: 923C4502
	s_add_u32 s16, s60, s16                                    // 00000000A960: 8010103C
	s_addc_u32 s17, 0, s17                                     // 00000000A964: 82111180
	v_and_b32_e32 v41, 15, v0                                  // 00000000A968: 2652008F
	v_lshlrev_b32_e32 v7, 4, v41                               // 00000000A96C: 240E5284
	s_mul_i32 s61, s2, s69                                     // 00000000A970: 923D4502
	s_mul_i32 s60, s7, 0x100                                   // 00000000A974: 923CFF07 00000100
	s_add_u32 s60, s60, s61                                    // 00000000A97C: 803C3D3C
	s_add_u32 s20, s60, s20                                    // 00000000A980: 8014143C
	s_addc_u32 s21, 0, s21                                     // 00000000A984: 82151580
	s_waitcnt vmcnt(4)                                         // 00000000A988: BF8C0F74
	v_mul_u32_u24_dpp v41, v19, v68 row_newbcast:0 row_mask:0xf bank_mask:0xf// 00000000A98C: 105288FA FF015013
	v_mul_u32_u24_dpp v42, v19, v68 row_newbcast:4 row_mask:0xf bank_mask:0xf// 00000000A994: 105488FA FF015413
	v_mul_u32_u24_dpp v43, v19, v68 row_newbcast:8 row_mask:0xf bank_mask:0xf// 00000000A99C: 105688FA FF015813
	v_mul_u32_u24_dpp v44, v19, v68 row_newbcast:12 row_mask:0xf bank_mask:0xf// 00000000A9A4: 105888FA FF015C13
	v_add_u32_e32 v25, v41, v6                                 // 00000000A9AC: 68320D29
	v_add_u32_e32 v26, v42, v6                                 // 00000000A9B0: 68340D2A
	v_add_u32_e32 v27, v43, v6                                 // 00000000A9B4: 68360D2B
	v_add_u32_e32 v28, v44, v6                                 // 00000000A9B8: 68380D2C
	v_mul_u32_u24_dpp v41, v19, v68 row_newbcast:1 row_mask:0xf bank_mask:0xf// 00000000A9BC: 105288FA FF015113
	v_mul_u32_u24_dpp v42, v19, v68 row_newbcast:5 row_mask:0xf bank_mask:0xf// 00000000A9C4: 105488FA FF015513
	v_mul_u32_u24_dpp v43, v19, v68 row_newbcast:9 row_mask:0xf bank_mask:0xf// 00000000A9CC: 105688FA FF015913
	v_mul_u32_u24_dpp v44, v19, v68 row_newbcast:13 row_mask:0xf bank_mask:0xf// 00000000A9D4: 105888FA FF015D13
	v_add_u32_e32 v33, v41, v7                                 // 00000000A9DC: 68420F29
	v_add_u32_e32 v34, v42, v7                                 // 00000000A9E0: 68440F2A
	v_add_u32_e32 v35, v43, v7                                 // 00000000A9E4: 68460F2B
	v_add_u32_e32 v36, v44, v7                                 // 00000000A9E8: 68480F2C
	v_mul_u32_u24_dpp v41, v19, v78 quad_perm:[0,0,0,0] row_mask:0xf bank_mask:0xf// 00000000A9EC: 10529CFA FF000013
	v_add_u32_e32 v2, v41, v74                                 // 00000000A9F4: 68049529
	v_mul_u32_u24_dpp v41, v19, v78 quad_perm:[0,0,0,0] row_mask:0xf bank_mask:0xf// 00000000A9F8: 10529CFA FF000013
	v_add_u32_e32 v70, v41, v75                                // 00000000AA00: 688C9729
	buffer_load_dword v52, v2, s[32:35], 0 offen               // 00000000AA04: E0501000 80083402
	buffer_load_dwordx4 a[0:3], v25, s[16:19], 0 offen         // 00000000AA0C: E05C1000 80840019
	buffer_load_dwordx4 a[4:7], v25, s[16:19], 0 offen offset:1024// 00000000AA14: E05C1400 80840419
	buffer_load_dwordx4 a[8:11], v26, s[16:19], 0 offen        // 00000000AA1C: E05C1000 8084081A
	buffer_load_dwordx4 a[12:15], v26, s[16:19], 0 offen offset:1024// 00000000AA24: E05C1400 80840C1A
	buffer_load_dwordx4 a[16:19], v27, s[16:19], 0 offen       // 00000000AA2C: E05C1000 8084101B
	buffer_load_dwordx4 a[20:23], v27, s[16:19], 0 offen offset:1024// 00000000AA34: E05C1400 8084141B
	buffer_load_dwordx4 a[24:27], v28, s[16:19], 0 offen       // 00000000AA3C: E05C1000 8084181C
	buffer_load_dwordx4 a[28:31], v28, s[16:19], 0 offen offset:1024// 00000000AA44: E05C1400 80841C1C
	buffer_load_dword v72, v70, s[36:39], 0 offen              // 00000000AA4C: E0501000 80094846
	buffer_load_dwordx4 a[64:67], v33, s[20:23], 0 offen       // 00000000AA54: E05C1000 80854021
	buffer_load_dwordx4 a[68:71], v34, s[20:23], 0 offen       // 00000000AA5C: E05C1000 80854422
	buffer_load_dwordx4 a[72:75], v35, s[20:23], 0 offen       // 00000000AA64: E05C1000 80854823
	buffer_load_dwordx4 a[76:79], v36, s[20:23], 0 offen       // 00000000AA6C: E05C1000 80854C24
	buffer_load_dwordx4 a[80:83], v33, s[20:23], 0 offen offset:1024// 00000000AA74: E05C1400 80855021
	buffer_load_dwordx4 a[84:87], v34, s[20:23], 0 offen offset:1024// 00000000AA7C: E05C1400 80855422
	buffer_load_dwordx4 a[88:91], v35, s[20:23], 0 offen offset:1024// 00000000AA84: E05C1400 80855823
	buffer_load_dwordx4 a[92:95], v36, s[20:23], 0 offen offset:1024// 00000000AA8C: E05C1400 80855C24
	v_lshrrev_b32_e32 v41, 4, v0                               // 00000000AA94: 20520084
	v_lshlrev_b32_e32 v42, 1, v41                              // 00000000AA98: 24545281
	v_and_b32_e32 v41, 15, v0                                  // 00000000AA9C: 2652008F
	v_mul_i32_i24_e32 v41, 0x42, v41                           // 00000000AAA0: 0C5252FF 00000042
	v_add_u32_e32 v42, v41, v42                                // 00000000AAA8: 68545529
	v_lshlrev_b32_e32 v4, 2, v42                               // 00000000AAAC: 24085482
	s_mul_i32 s60, s7, 32                                      // 00000000AAB0: 923CA007
	v_add_u32_e32 v4, s60, v4                                  // 00000000AAB4: 6808083C
	s_waitcnt vmcnt(16) lgkmcnt(0)                             // 00000000AAB8: BF8C4070
	s_barrier                                                  // 00000000AABC: BF8A0000
	ds_read_b64 v[96:97], v4                                   // 00000000AAC0: D8EC0000 60000004
	ds_read_b64 v[100:101], v4 offset:128                      // 00000000AAC8: D8EC0080 64000004
	s_waitcnt lgkmcnt(0)                                       // 00000000AAD0: BF8CC07F
	v_and_b32_e32 v99, 0xffff0000, v97                         // 00000000AAD4: 26C6C2FF FFFF0000
	v_lshlrev_b32_e32 v98, 16, v97                             // 00000000AADC: 24C4C290
	v_and_b32_e32 v97, 0xffff0000, v96                         // 00000000AAE0: 26C2C0FF FFFF0000
	v_lshlrev_b32_e32 v96, 16, v96                             // 00000000AAE8: 24C0C090
	v_and_b32_e32 v103, 0xffff0000, v101                       // 00000000AAEC: 26CECAFF FFFF0000
	v_lshlrev_b32_e32 v102, 16, v101                           // 00000000AAF4: 24CCCA90
	v_and_b32_e32 v101, 0xffff0000, v100                       // 00000000AAF8: 26CAC8FF FFFF0000
	v_lshlrev_b32_e32 v100, 16, v100                           // 00000000AB00: 24C8C890
	v_mov_b32_e32 v62, 0x358637bd                              // 00000000AB04: 7E7C02FF 358637BD
	v_max3_f32 v62, |v96|, |v97|, v62                          // 00000000AB0C: D1D3033E 04FAC360
	v_max3_f32 v62, |v98|, |v99|, v62                          // 00000000AB14: D1D3033E 04FAC762
	v_max3_f32 v62, |v100|, |v101|, v62                        // 00000000AB1C: D1D3033E 04FACB64
	v_max3_f32 v62, |v102|, |v103|, v62                        // 00000000AB24: D1D3033E 04FACF66
	ds_write_b32 v11, v62 offset:16896                         // 00000000AB2C: D81A4200 00003E0B
	s_waitcnt lgkmcnt(0)                                       // 00000000AB34: BF8CC07F
	s_barrier                                                  // 00000000AB38: BF8A0000
	ds_read_b32 v80, v10 offset:16896                          // 00000000AB3C: D86C4200 5000000A
	ds_read_b32 v81, v10 offset:16960                          // 00000000AB44: D86C4240 5100000A
	ds_read_b32 v82, v10 offset:17024                          // 00000000AB4C: D86C4280 5200000A
	ds_read_b32 v83, v10 offset:17088                          // 00000000AB54: D86C42C0 5300000A
	ds_read_b32 v84, v10 offset:17152                          // 00000000AB5C: D86C4300 5400000A
	ds_read_b32 v85, v10 offset:17216                          // 00000000AB64: D86C4340 5500000A
	ds_read_b32 v86, v10 offset:17280                          // 00000000AB6C: D86C4380 5600000A
	ds_read_b32 v87, v10 offset:17344                          // 00000000AB74: D86C43C0 5700000A
	ds_read_b32 v88, v10 offset:17408                          // 00000000AB7C: D86C4400 5800000A
	ds_read_b32 v89, v10 offset:17472                          // 00000000AB84: D86C4440 5900000A
	ds_read_b32 v90, v10 offset:17536                          // 00000000AB8C: D86C4480 5A00000A
	ds_read_b32 v91, v10 offset:17600                          // 00000000AB94: D86C44C0 5B00000A
	ds_read_b32 v92, v10 offset:17664                          // 00000000AB9C: D86C4500 5C00000A
	ds_read_b32 v93, v10 offset:17728                          // 00000000ABA4: D86C4540 5D00000A
	ds_read_b32 v94, v10 offset:17792                          // 00000000ABAC: D86C4580 5E00000A
	ds_read_b32 v95, v10 offset:17856                          // 00000000ABB4: D86C45C0 5F00000A
	s_waitcnt lgkmcnt(0)                                       // 00000000ABBC: BF8CC07F
	v_max3_f32 v62, |v80|, |v81|, v62                          // 00000000ABC0: D1D3033E 04FAA350
	v_max3_f32 v62, |v82|, |v83|, v62                          // 00000000ABC8: D1D3033E 04FAA752
	v_max3_f32 v62, |v84|, |v85|, v62                          // 00000000ABD0: D1D3033E 04FAAB54
	v_max3_f32 v62, |v86|, |v87|, v62                          // 00000000ABD8: D1D3033E 04FAAF56
	v_max3_f32 v62, |v88|, |v89|, v62                          // 00000000ABE0: D1D3033E 04FAB358
	v_max3_f32 v62, |v90|, |v91|, v62                          // 00000000ABE8: D1D3033E 04FAB75A
	v_max3_f32 v62, |v92|, |v93|, v62                          // 00000000ABF0: D1D3033E 04FABB5C
	v_max3_f32 v62, |v94|, |v95|, v62                          // 00000000ABF8: D1D3033E 04FABF5E
	v_rcp_f32_e32 v62, v62                                     // 00000000AC00: 7E7C453E
	s_nop 1                                                    // 00000000AC04: BF800001
	v_mul_f32_e32 v62, 0x43e00000, v62                         // 00000000AC08: 0A7C7CFF 43E00000
	v_mul_f32_e32 v96, v62, v96                                // 00000000AC10: 0AC0C13E
	v_mul_f32_e32 v97, v62, v97                                // 00000000AC14: 0AC2C33E
	v_mul_f32_e32 v98, v62, v98                                // 00000000AC18: 0AC4C53E
	v_mul_f32_e32 v99, v62, v99                                // 00000000AC1C: 0AC6C73E
	v_mul_f32_e32 v100, v62, v100                              // 00000000AC20: 0AC8C93E
	v_mul_f32_e32 v101, v62, v101                              // 00000000AC24: 0ACACB3E
	v_mul_f32_e32 v102, v62, v102                              // 00000000AC28: 0ACCCD3E
	v_mul_f32_e32 v103, v62, v103                              // 00000000AC2C: 0ACECF3E
	v_rcp_f32_e32 v54, v62                                     // 00000000AC30: 7E6C453E
	v_cvt_pk_fp8_f32 v96, v96, v97                             // 00000000AC34: D2A20060 0002C360
	v_cvt_pk_fp8_f32 v96, v98, v99 op_sel:[0,0,1]              // 00000000AC3C: D2A24060 0002C762
	v_cvt_pk_fp8_f32 v97, v100, v101                           // 00000000AC44: D2A20061 0002CB64
	v_cvt_pk_fp8_f32 v97, v102, v103 op_sel:[0,0,1]            // 00000000AC4C: D2A24061 0002CF66
	ds_write_b32 v13, v96 offset:25088                         // 00000000AC54: D81A6200 0000600D
	ds_write_b32 v13, v97 offset:26112                         // 00000000AC5C: D81A6600 0000610D
	s_waitcnt lgkmcnt(0)                                       // 00000000AC64: BF8CC07F
	s_barrier                                                  // 00000000AC68: BF8A0000
	ds_read_b64 v[96:97], v12 offset:25088                     // 00000000AC6C: D8EC6200 6000000C
	ds_read_b64 v[98:99], v12 offset:25216                     // 00000000AC74: D8EC6280 6200000C
	ds_read_b64 v[100:101], v12 offset:26112                   // 00000000AC7C: D8EC6600 6400000C
	ds_read_b64 v[102:103], v12 offset:26240                   // 00000000AC84: D8EC6680 6600000C
	v_mov_b32_e32 v224, 0                                      // 00000000AC8C: 7FC00280
	v_mov_b32_e32 v225, 0                                      // 00000000AC90: 7FC20280
	v_mov_b32_e32 v226, 0                                      // 00000000AC94: 7FC40280
	v_mov_b32_e32 v227, 0                                      // 00000000AC98: 7FC60280
	v_mov_b32_e32 v228, 0                                      // 00000000AC9C: 7FC80280
	v_mov_b32_e32 v229, 0                                      // 00000000ACA0: 7FCA0280
	v_mov_b32_e32 v230, 0                                      // 00000000ACA4: 7FCC0280
	v_mov_b32_e32 v231, 0                                      // 00000000ACA8: 7FCE0280
	v_mov_b32_e32 v192, 0                                      // 00000000ACAC: 7F800280
	v_mov_b32_e32 v193, 0                                      // 00000000ACB0: 7F820280
	v_mov_b32_e32 v194, 0                                      // 00000000ACB4: 7F840280
	v_mov_b32_e32 v195, 0                                      // 00000000ACB8: 7F860280
	v_mov_b32_e32 v196, 0                                      // 00000000ACBC: 7F880280
	v_mov_b32_e32 v197, 0                                      // 00000000ACC0: 7F8A0280
	v_mov_b32_e32 v198, 0                                      // 00000000ACC4: 7F8C0280
	v_mov_b32_e32 v199, 0                                      // 00000000ACC8: 7F8E0280
	ds_read_b64 v[104:105], v4 offset:4224                     // 00000000ACCC: D8EC1080 68000004
	ds_read_b64 v[108:109], v4 offset:4352                     // 00000000ACD4: D8EC1100 6C000004
	s_waitcnt lgkmcnt(0)                                       // 00000000ACDC: BF8CC07F
	v_and_b32_e32 v107, 0xffff0000, v105                       // 00000000ACE0: 26D6D2FF FFFF0000
	v_lshlrev_b32_e32 v106, 16, v105                           // 00000000ACE8: 24D4D290
	v_and_b32_e32 v105, 0xffff0000, v104                       // 00000000ACEC: 26D2D0FF FFFF0000
	v_lshlrev_b32_e32 v104, 16, v104                           // 00000000ACF4: 24D0D090
	v_and_b32_e32 v111, 0xffff0000, v109                       // 00000000ACF8: 26DEDAFF FFFF0000
	v_lshlrev_b32_e32 v110, 16, v109                           // 00000000AD00: 24DCDA90
	v_and_b32_e32 v109, 0xffff0000, v108                       // 00000000AD04: 26DAD8FF FFFF0000
	v_lshlrev_b32_e32 v108, 16, v108                           // 00000000AD0C: 24D8D890
	v_mov_b32_e32 v62, 0x358637bd                              // 00000000AD10: 7E7C02FF 358637BD
	v_max3_f32 v62, |v104|, |v105|, v62                        // 00000000AD18: D1D3033E 04FAD368
	v_max3_f32 v62, |v106|, |v107|, v62                        // 00000000AD20: D1D3033E 04FAD76A
	v_max3_f32 v62, |v108|, |v109|, v62                        // 00000000AD28: D1D3033E 04FADB6C
	v_max3_f32 v62, |v110|, |v111|, v62                        // 00000000AD30: D1D3033E 04FADF6E
	ds_write_b32 v11, v62 offset:16896                         // 00000000AD38: D81A4200 00003E0B
	s_waitcnt lgkmcnt(0)                                       // 00000000AD40: BF8CC07F
	s_barrier                                                  // 00000000AD44: BF8A0000
	ds_read_b32 v80, v10 offset:16896                          // 00000000AD48: D86C4200 5000000A
	ds_read_b32 v81, v10 offset:16960                          // 00000000AD50: D86C4240 5100000A
	ds_read_b32 v82, v10 offset:17024                          // 00000000AD58: D86C4280 5200000A
	ds_read_b32 v83, v10 offset:17088                          // 00000000AD60: D86C42C0 5300000A
	ds_read_b32 v84, v10 offset:17152                          // 00000000AD68: D86C4300 5400000A
	ds_read_b32 v85, v10 offset:17216                          // 00000000AD70: D86C4340 5500000A
	ds_read_b32 v86, v10 offset:17280                          // 00000000AD78: D86C4380 5600000A
	ds_read_b32 v87, v10 offset:17344                          // 00000000AD80: D86C43C0 5700000A
	ds_read_b32 v88, v10 offset:17408                          // 00000000AD88: D86C4400 5800000A
	ds_read_b32 v89, v10 offset:17472                          // 00000000AD90: D86C4440 5900000A
	ds_read_b32 v90, v10 offset:17536                          // 00000000AD98: D86C4480 5A00000A
	ds_read_b32 v91, v10 offset:17600                          // 00000000ADA0: D86C44C0 5B00000A
	ds_read_b32 v92, v10 offset:17664                          // 00000000ADA8: D86C4500 5C00000A
	ds_read_b32 v93, v10 offset:17728                          // 00000000ADB0: D86C4540 5D00000A
	ds_read_b32 v94, v10 offset:17792                          // 00000000ADB8: D86C4580 5E00000A
	ds_read_b32 v95, v10 offset:17856                          // 00000000ADC0: D86C45C0 5F00000A
	s_waitcnt lgkmcnt(0)                                       // 00000000ADC8: BF8CC07F
	v_max3_f32 v62, |v80|, |v81|, v62                          // 00000000ADCC: D1D3033E 04FAA350
	v_max3_f32 v62, |v82|, |v83|, v62                          // 00000000ADD4: D1D3033E 04FAA752
	v_max3_f32 v62, |v84|, |v85|, v62                          // 00000000ADDC: D1D3033E 04FAAB54
	v_max3_f32 v62, |v86|, |v87|, v62                          // 00000000ADE4: D1D3033E 04FAAF56
	v_max3_f32 v62, |v88|, |v89|, v62                          // 00000000ADEC: D1D3033E 04FAB358
	v_max3_f32 v62, |v90|, |v91|, v62                          // 00000000ADF4: D1D3033E 04FAB75A
	v_max3_f32 v62, |v92|, |v93|, v62                          // 00000000ADFC: D1D3033E 04FABB5C
	v_max3_f32 v62, |v94|, |v95|, v62                          // 00000000AE04: D1D3033E 04FABF5E
	v_rcp_f32_e32 v62, v62                                     // 00000000AE0C: 7E7C453E
	s_nop 1                                                    // 00000000AE10: BF800001
	v_mul_f32_e32 v62, 0x43e00000, v62                         // 00000000AE14: 0A7C7CFF 43E00000
	v_mul_f32_e32 v104, v62, v104                              // 00000000AE1C: 0AD0D13E
	v_mul_f32_e32 v105, v62, v105                              // 00000000AE20: 0AD2D33E
	v_mul_f32_e32 v106, v62, v106                              // 00000000AE24: 0AD4D53E
	v_mul_f32_e32 v107, v62, v107                              // 00000000AE28: 0AD6D73E
	v_mul_f32_e32 v108, v62, v108                              // 00000000AE2C: 0AD8D93E
	v_mul_f32_e32 v109, v62, v109                              // 00000000AE30: 0ADADB3E
	v_mul_f32_e32 v110, v62, v110                              // 00000000AE34: 0ADCDD3E
	v_mul_f32_e32 v111, v62, v111                              // 00000000AE38: 0ADEDF3E
	v_rcp_f32_e32 v55, v62                                     // 00000000AE3C: 7E6E453E
	v_cvt_pk_fp8_f32 v104, v104, v105                          // 00000000AE40: D2A20068 0002D368
	v_cvt_pk_fp8_f32 v104, v106, v107 op_sel:[0,0,1]           // 00000000AE48: D2A24068 0002D76A
	v_cvt_pk_fp8_f32 v105, v108, v109                          // 00000000AE50: D2A20069 0002DB6C
	v_cvt_pk_fp8_f32 v105, v110, v111 op_sel:[0,0,1]           // 00000000AE58: D2A24069 0002DF6E
	ds_write_b32 v13, v104 offset:25088                        // 00000000AE60: D81A6200 0000680D
	ds_write_b32 v13, v105 offset:26112                        // 00000000AE68: D81A6600 0000690D
	s_waitcnt lgkmcnt(0)                                       // 00000000AE70: BF8CC07F
	s_barrier                                                  // 00000000AE74: BF8A0000
	ds_read_b64 v[104:105], v12 offset:25088                   // 00000000AE78: D8EC6200 6800000C
	ds_read_b64 v[106:107], v12 offset:25216                   // 00000000AE80: D8EC6280 6A00000C
	ds_read_b64 v[108:109], v12 offset:26112                   // 00000000AE88: D8EC6600 6C00000C
	ds_read_b64 v[110:111], v12 offset:26240                   // 00000000AE90: D8EC6680 6E00000C
	v_mov_b32_e32 v232, 0                                      // 00000000AE98: 7FD00280
	v_mov_b32_e32 v233, 0                                      // 00000000AE9C: 7FD20280
	v_mov_b32_e32 v234, 0                                      // 00000000AEA0: 7FD40280
	v_mov_b32_e32 v235, 0                                      // 00000000AEA4: 7FD60280
	v_mov_b32_e32 v236, 0                                      // 00000000AEA8: 7FD80280
	v_mov_b32_e32 v237, 0                                      // 00000000AEAC: 7FDA0280
	v_mov_b32_e32 v238, 0                                      // 00000000AEB0: 7FDC0280
	v_mov_b32_e32 v239, 0                                      // 00000000AEB4: 7FDE0280
	v_mov_b32_e32 v200, 0                                      // 00000000AEB8: 7F900280
	v_mov_b32_e32 v201, 0                                      // 00000000AEBC: 7F920280
	v_mov_b32_e32 v202, 0                                      // 00000000AEC0: 7F940280
	v_mov_b32_e32 v203, 0                                      // 00000000AEC4: 7F960280
	v_mov_b32_e32 v204, 0                                      // 00000000AEC8: 7F980280
	v_mov_b32_e32 v205, 0                                      // 00000000AECC: 7F9A0280
	v_mov_b32_e32 v206, 0                                      // 00000000AED0: 7F9C0280
	v_mov_b32_e32 v207, 0                                      // 00000000AED4: 7F9E0280
	s_waitcnt vmcnt(8) lgkmcnt(0)                              // 00000000AED8: BF8C0078
	s_barrier                                                  // 00000000AEDC: BF8A0000
	s_cmp_lt_u32 s73, 16                                       // 00000000AEE0: BF0A9049
	s_cbranch_scc1 label_37E5                                  // 00000000AEE4: BF8514AB
	s_cmp_lt_i32 s7, 2                                         // 00000000AEE8: BF048207
	s_cbranch_scc0 label_2D92                                  // 00000000AEEC: BF840A56

000000000000aef0 <label_233C>:
	s_waitcnt vmcnt(8) lgkmcnt(0)                              // 00000000AEF0: BF8C0078
	v_mul_u32_u24_dpp v41, v20, v68 row_newbcast:0 row_mask:0xf bank_mask:0xf// 00000000AEF4: 105288FA FF015014
	v_mul_u32_u24_dpp v42, v20, v68 row_newbcast:4 row_mask:0xf bank_mask:0xf// 00000000AEFC: 105488FA FF015414
	v_mul_u32_u24_dpp v43, v20, v68 row_newbcast:8 row_mask:0xf bank_mask:0xf// 00000000AF04: 105688FA FF015814
	v_mul_u32_u24_dpp v44, v20, v68 row_newbcast:12 row_mask:0xf bank_mask:0xf// 00000000AF0C: 105888FA FF015C14
	v_add_u32_e32 v29, v41, v6                                 // 00000000AF14: 683A0D29
	v_add_u32_e32 v30, v42, v6                                 // 00000000AF18: 683C0D2A
	v_add_u32_e32 v31, v43, v6                                 // 00000000AF1C: 683E0D2B
	v_add_u32_e32 v32, v44, v6                                 // 00000000AF20: 68400D2C
	v_mul_u32_u24_dpp v41, v20, v78 quad_perm:[0,0,0,0] row_mask:0xf bank_mask:0xf// 00000000AF24: 10529CFA FF000014
	v_add_u32_e32 v3, v41, v74                                 // 00000000AF2C: 68069529
	v_mul_u32_u24_dpp v41, v20, v78 quad_perm:[0,0,0,0] row_mask:0xf bank_mask:0xf// 00000000AF30: 10529CFA FF000014
	v_add_u32_e32 v71, v41, v75                                // 00000000AF38: 688E9729
	v_mfma_f32_16x16x32_fp8_fp8 v[128:131], a[0:1], v[96:97], 0// 00000000AF3C: D3F30080 0A02C100
	v_mfma_f32_16x16x32_fp8_fp8 v[128:131], a[2:3], v[98:99], v[128:131]// 00000000AF44: D3F30080 0E02C502
	buffer_load_dwordx4 a[32:35], v29, s[16:19], 0 offen       // 00000000AF4C: E05C1000 8084201D
	v_mfma_f32_16x16x32_fp8_fp8 v[128:131], a[4:5], v[100:101], v[128:131]// 00000000AF54: D3F30080 0E02C904
	v_mfma_f32_16x16x32_fp8_fp8 v[128:131], a[6:7], v[102:103], v[128:131]// 00000000AF5C: D3F30080 0E02CD06
	buffer_load_dword v19, v1, s[24:27], 0 offen               // 00000000AF64: E0501000 80061301
	v_mfma_f32_16x16x32_fp8_fp8 v[132:135], a[8:9], v[96:97], 0// 00000000AF6C: D3F30084 0A02C108
	v_mfma_f32_16x16x32_fp8_fp8 v[132:135], a[10:11], v[98:99], v[132:135]// 00000000AF74: D3F30084 0E12C50A
	buffer_load_dwordx4 a[36:39], v29, s[16:19], 0 offen offset:1024// 00000000AF7C: E05C1400 8084241D
	v_mfma_f32_16x16x32_fp8_fp8 v[132:135], a[12:13], v[100:101], v[132:135]// 00000000AF84: D3F30084 0E12C90C
	v_mfma_f32_16x16x32_fp8_fp8 v[132:135], a[14:15], v[102:103], v[132:135]// 00000000AF8C: D3F30084 0E12CD0E
	v_mfma_f32_16x16x32_fp8_fp8 v[136:139], a[16:17], v[96:97], 0// 00000000AF94: D3F30088 0A02C110
	v_mfma_f32_16x16x32_fp8_fp8 v[136:139], a[18:19], v[98:99], v[136:139]// 00000000AF9C: D3F30088 0E22C512
	buffer_load_dwordx4 a[40:43], v30, s[16:19], 0 offen       // 00000000AFA4: E05C1000 8084281E
	v_mfma_f32_16x16x32_fp8_fp8 v[136:139], a[20:21], v[100:101], v[136:139]// 00000000AFAC: D3F30088 0E22C914
	v_mfma_f32_16x16x32_fp8_fp8 v[136:139], a[22:23], v[102:103], v[136:139]// 00000000AFB4: D3F30088 0E22CD16
	v_mfma_f32_16x16x32_fp8_fp8 v[140:143], a[24:25], v[96:97], 0// 00000000AFBC: D3F3008C 0A02C118
	v_mfma_f32_16x16x32_fp8_fp8 v[140:143], a[26:27], v[98:99], v[140:143]// 00000000AFC4: D3F3008C 0E32C51A
	buffer_load_dwordx4 a[44:47], v30, s[16:19], 0 offen offset:1024// 00000000AFCC: E05C1400 80842C1E
	v_mfma_f32_16x16x32_fp8_fp8 v[140:143], a[28:29], v[100:101], v[140:143]// 00000000AFD4: D3F3008C 0E32C91C
	v_mfma_f32_16x16x32_fp8_fp8 v[140:143], a[30:31], v[102:103], v[140:143]// 00000000AFDC: D3F3008C 0E32CD1E
	v_mfma_f32_16x16x32_fp8_fp8 v[144:147], a[0:1], v[104:105], 0// 00000000AFE4: D3F30090 0A02D100
	v_mfma_f32_16x16x32_fp8_fp8 v[144:147], a[2:3], v[106:107], v[144:147]// 00000000AFEC: D3F30090 0E42D502
	v_mfma_f32_16x16x32_fp8_fp8 v[144:147], a[4:5], v[108:109], v[144:147]// 00000000AFF4: D3F30090 0E42D904
	v_mfma_f32_16x16x32_fp8_fp8 v[144:147], a[6:7], v[110:111], v[144:147]// 00000000AFFC: D3F30090 0E42DD06
	v_mfma_f32_16x16x32_fp8_fp8 v[148:151], a[8:9], v[104:105], 0// 00000000B004: D3F30094 0A02D108
	v_mfma_f32_16x16x32_fp8_fp8 v[148:151], a[10:11], v[106:107], v[148:151]// 00000000B00C: D3F30094 0E52D50A
	v_mfma_f32_16x16x32_fp8_fp8 v[148:151], a[12:13], v[108:109], v[148:151]// 00000000B014: D3F30094 0E52D90C
	v_mfma_f32_16x16x32_fp8_fp8 v[148:151], a[14:15], v[110:111], v[148:151]// 00000000B01C: D3F30094 0E52DD0E
	v_mfma_f32_16x16x32_fp8_fp8 v[152:155], a[16:17], v[104:105], 0// 00000000B024: D3F30098 0A02D110
	v_mfma_f32_16x16x32_fp8_fp8 v[152:155], a[18:19], v[106:107], v[152:155]// 00000000B02C: D3F30098 0E62D512
	v_mfma_f32_16x16x32_fp8_fp8 v[152:155], a[20:21], v[108:109], v[152:155]// 00000000B034: D3F30098 0E62D914
	v_mfma_f32_16x16x32_fp8_fp8 v[152:155], a[22:23], v[110:111], v[152:155]// 00000000B03C: D3F30098 0E62DD16
	v_mfma_f32_16x16x32_fp8_fp8 v[156:159], a[24:25], v[104:105], 0// 00000000B044: D3F3009C 0A02D118
	v_mfma_f32_16x16x32_fp8_fp8 v[156:159], a[26:27], v[106:107], v[156:159]// 00000000B04C: D3F3009C 0E72D51A
	v_mfma_f32_16x16x32_fp8_fp8 v[156:159], a[28:29], v[108:109], v[156:159]// 00000000B054: D3F3009C 0E72D91C
	v_mfma_f32_16x16x32_fp8_fp8 v[156:159], a[30:31], v[110:111], v[156:159]// 00000000B05C: D3F3009C 0E72DD1E
	buffer_load_dword v53, v3, s[32:35], 0 offen               // 00000000B064: E0501000 80083503
	v_mov_b32_dpp v41, v52 row_shr:4 row_mask:0xf bank_mask:0xf// 00000000B06C: 7E5202FA FF011434
	v_mov_b32_dpp v42, v52 row_shl:4 row_mask:0xf bank_mask:0xf// 00000000B074: 7E5402FA FF010434
	v_cndmask_b32_e64 v248, v52, v41, s[44:45]                 // 00000000B07C: D10000F8 00B25334
	v_cndmask_b32_e64 v249, v42, v52, s[44:45]                 // 00000000B084: D10000F9 00B2692A
	v_mov_b32_dpp v41, v248 row_shr:8 row_mask:0xf bank_mask:0xf// 00000000B08C: 7E5202FA FF0118F8
	v_mov_b32_dpp v42, v248 row_shl:8 row_mask:0xf bank_mask:0xf// 00000000B094: 7E5402FA FF0108F8
	v_mov_b32_dpp v43, v249 row_shr:8 row_mask:0xf bank_mask:0xf// 00000000B09C: 7E5602FA FF0118F9
	v_mov_b32_dpp v44, v249 row_shl:8 row_mask:0xf bank_mask:0xf// 00000000B0A4: 7E5802FA FF0108F9
	v_mov_b32_e32 v45, v248                                    // 00000000B0AC: 7E5A03F8
	v_mov_b32_e32 v46, v249                                    // 00000000B0B0: 7E5C03F9
	v_cndmask_b32_e64 v248, v45, v41, s[42:43]                 // 00000000B0B4: D10000F8 00AA532D
	v_cndmask_b32_e64 v250, v45, v42, s[78:79]                 // 00000000B0BC: D10000FA 013A552D
	v_cndmask_b32_e64 v249, v46, v43, s[42:43]                 // 00000000B0C4: D10000F9 00AA572E
	v_cndmask_b32_e64 v251, v46, v44, s[78:79]                 // 00000000B0CC: D10000FB 013A592E
	v_mov_b32_dpp v41, v72 row_shr:4 row_mask:0xf bank_mask:0xf// 00000000B0D4: 7E5202FA FF011448
	v_mov_b32_dpp v42, v72 row_shl:4 row_mask:0xf bank_mask:0xf// 00000000B0DC: 7E5402FA FF010448
	v_cndmask_b32_e64 v252, v72, v41, s[44:45]                 // 00000000B0E4: D10000FC 00B25348
	v_cndmask_b32_e64 v253, v42, v72, s[44:45]                 // 00000000B0EC: D10000FD 00B2912A
	v_mov_b32_dpp v41, v252 row_shr:8 row_mask:0xf bank_mask:0xf// 00000000B0F4: 7E5202FA FF0118FC
	v_mov_b32_dpp v42, v252 row_shl:8 row_mask:0xf bank_mask:0xf// 00000000B0FC: 7E5402FA FF0108FC
	v_mov_b32_dpp v43, v253 row_shr:8 row_mask:0xf bank_mask:0xf// 00000000B104: 7E5602FA FF0118FD
	v_mov_b32_dpp v44, v253 row_shl:8 row_mask:0xf bank_mask:0xf// 00000000B10C: 7E5802FA FF0108FD
	v_mov_b32_e32 v45, v252                                    // 00000000B114: 7E5A03FC
	v_mov_b32_e32 v46, v253                                    // 00000000B118: 7E5C03FD
	v_cndmask_b32_e64 v252, v45, v41, s[42:43]                 // 00000000B11C: D10000FC 00AA532D
	v_cndmask_b32_e64 v254, v45, v42, s[78:79]                 // 00000000B124: D10000FE 013A552D
	v_cndmask_b32_e64 v253, v46, v43, s[42:43]                 // 00000000B12C: D10000FD 00AA572E
	v_cndmask_b32_e64 v255, v46, v44, s[78:79]                 // 00000000B134: D10000FF 013A592E
	buffer_load_dword v73, v71, s[36:39], 0 offen              // 00000000B13C: E0501000 80094947
	v_mul_f32_e32 v128, v54, v128                              // 00000000B144: 0B010136
	v_mul_f32_e32 v129, v54, v129                              // 00000000B148: 0B030336
	v_mul_f32_e32 v130, v54, v130                              // 00000000B14C: 0B050536
	v_mul_f32_e32 v131, v54, v131                              // 00000000B150: 0B070736
	v_mul_f32_e32 v132, v54, v132                              // 00000000B154: 0B090936
	v_mul_f32_e32 v133, v54, v133                              // 00000000B158: 0B0B0B36
	v_mul_f32_e32 v134, v54, v134                              // 00000000B15C: 0B0D0D36
	v_mul_f32_e32 v135, v54, v135                              // 00000000B160: 0B0F0F36
	v_mul_f32_e32 v136, v54, v136                              // 00000000B164: 0B111136
	v_mul_f32_e32 v137, v54, v137                              // 00000000B168: 0B131336
	v_mul_f32_e32 v138, v54, v138                              // 00000000B16C: 0B151536
	v_mul_f32_e32 v139, v54, v139                              // 00000000B170: 0B171736
	v_mul_f32_e32 v140, v54, v140                              // 00000000B174: 0B191936
	v_mul_f32_e32 v141, v54, v141                              // 00000000B178: 0B1B1B36
	v_mul_f32_e32 v142, v54, v142                              // 00000000B17C: 0B1D1D36
	v_mul_f32_e32 v143, v54, v143                              // 00000000B180: 0B1F1F36
	buffer_load_dwordx4 a[48:51], v31, s[16:19], 0 offen       // 00000000B184: E05C1000 8084301F
	v_mul_f32_dpp v128, v248, v128 quad_perm:[0,0,0,0] row_mask:0xf bank_mask:0xf// 00000000B18C: 0B0100FA FF0000F8
	v_mul_f32_dpp v129, v248, v129 quad_perm:[1,1,1,1] row_mask:0xf bank_mask:0xf// 00000000B194: 0B0302FA FF0055F8
	v_mul_f32_dpp v130, v248, v130 quad_perm:[2,2,2,2] row_mask:0xf bank_mask:0xf// 00000000B19C: 0B0504FA FF00AAF8
	v_mul_f32_dpp v131, v248, v131 quad_perm:[3,3,3,3] row_mask:0xf bank_mask:0xf// 00000000B1A4: 0B0706FA FF00FFF8
	v_mul_f32_dpp v132, v249, v132 quad_perm:[0,0,0,0] row_mask:0xf bank_mask:0xf// 00000000B1AC: 0B0908FA FF0000F9
	v_mul_f32_dpp v133, v249, v133 quad_perm:[1,1,1,1] row_mask:0xf bank_mask:0xf// 00000000B1B4: 0B0B0AFA FF0055F9
	v_mul_f32_dpp v134, v249, v134 quad_perm:[2,2,2,2] row_mask:0xf bank_mask:0xf// 00000000B1BC: 0B0D0CFA FF00AAF9
	v_mul_f32_dpp v135, v249, v135 quad_perm:[3,3,3,3] row_mask:0xf bank_mask:0xf// 00000000B1C4: 0B0F0EFA FF00FFF9
	v_mul_f32_dpp v136, v250, v136 quad_perm:[0,0,0,0] row_mask:0xf bank_mask:0xf// 00000000B1CC: 0B1110FA FF0000FA
	v_mul_f32_dpp v137, v250, v137 quad_perm:[1,1,1,1] row_mask:0xf bank_mask:0xf// 00000000B1D4: 0B1312FA FF0055FA
	v_mul_f32_dpp v138, v250, v138 quad_perm:[2,2,2,2] row_mask:0xf bank_mask:0xf// 00000000B1DC: 0B1514FA FF00AAFA
	v_mul_f32_dpp v139, v250, v139 quad_perm:[3,3,3,3] row_mask:0xf bank_mask:0xf// 00000000B1E4: 0B1716FA FF00FFFA
	v_mul_f32_dpp v140, v251, v140 quad_perm:[0,0,0,0] row_mask:0xf bank_mask:0xf// 00000000B1EC: 0B1918FA FF0000FB
	v_mul_f32_dpp v141, v251, v141 quad_perm:[1,1,1,1] row_mask:0xf bank_mask:0xf// 00000000B1F4: 0B1B1AFA FF0055FB
	v_mul_f32_dpp v142, v251, v142 quad_perm:[2,2,2,2] row_mask:0xf bank_mask:0xf// 00000000B1FC: 0B1D1CFA FF00AAFB
	v_mul_f32_dpp v143, v251, v143 quad_perm:[3,3,3,3] row_mask:0xf bank_mask:0xf// 00000000B204: 0B1F1EFA FF00FFFB
	buffer_load_dwordx4 a[52:55], v31, s[16:19], 0 offen offset:1024// 00000000B20C: E05C1400 8084341F
	s_cmp_le_i32 s90, s89                                      // 00000000B214: BF05595A
	s_cbranch_scc1 label_247A                                  // 00000000B218: BF850073
	v_mov_b32_e32 v69, 0xff800000                              // 00000000B21C: 7E8A02FF FF800000
	s_mov_b32 s60, s90                                         // 00000000B224: BEBC005A
	s_add_u32 s61, s89, 0xff                                   // 00000000B228: 803DFF59 000000FF
	v_mov_b32_e32 v41, s61                                     // 00000000B230: 7E52023D
	v_lshrrev_b32_e32 v240, 4, v0                              // 00000000B234: 21E00084
	v_mul_i32_i24_e32 v240, 4, v240                            // 00000000B238: 0DE1E084
	v_add_u32_e32 v240, s60, v240                              // 00000000B23C: 69E1E03C
	v_and_b32_e32 v42, 15, v0                                  // 00000000B240: 2654008F
	v_lshrrev_b32_e32 v42, 3, v42                              // 00000000B244: 20545483
	s_mov_b32 s61, 0                                           // 00000000B248: BEBD0080
	s_mul_i32 s60, 16, s7                                      // 00000000B24C: 923C0790
	v_add_u32_e32 v42, s61, v42                                // 00000000B250: 6854543D
	v_sub_u32_e32 v240, v240, v42                              // 00000000B254: 6BE055F0
	v_add_u32_e32 v240, s60, v240                              // 00000000B258: 69E1E03C
	v_add_u32_e32 v241, 1, v240                                // 00000000B25C: 69E3E081
	v_add_u32_e32 v242, 2, v240                                // 00000000B260: 69E5E082
	v_add_u32_e32 v243, 3, v240                                // 00000000B264: 69E7E083
	v_cmp_le_u32_e64 s[40:41], v240, v41                       // 00000000B268: D0CB0028 000253F0
	v_add_u32_e32 v240, 64, v240                               // 00000000B270: 69E1E0C0
	s_nop 0                                                    // 00000000B274: BF800000
	v_cndmask_b32_e64 v128, v69, v128, s[40:41]                // 00000000B278: D1000080 00A30145
	v_cmp_le_u32_e64 s[40:41], v241, v41                       // 00000000B280: D0CB0028 000253F1
	v_add_u32_e32 v241, 64, v241                               // 00000000B288: 69E3E2C0
	s_nop 0                                                    // 00000000B28C: BF800000
	v_cndmask_b32_e64 v129, v69, v129, s[40:41]                // 00000000B290: D1000081 00A30345
	v_cmp_le_u32_e64 s[40:41], v242, v41                       // 00000000B298: D0CB0028 000253F2
	v_add_u32_e32 v242, 64, v242                               // 00000000B2A0: 69E5E4C0
	s_nop 0                                                    // 00000000B2A4: BF800000
	v_cndmask_b32_e64 v130, v69, v130, s[40:41]                // 00000000B2A8: D1000082 00A30545
	v_cmp_le_u32_e64 s[40:41], v243, v41                       // 00000000B2B0: D0CB0028 000253F3
	v_add_u32_e32 v243, 64, v243                               // 00000000B2B8: 69E7E6C0
	s_nop 0                                                    // 00000000B2BC: BF800000
	v_cndmask_b32_e64 v131, v69, v131, s[40:41]                // 00000000B2C0: D1000083 00A30745
	v_cmp_le_u32_e64 s[40:41], v240, v41                       // 00000000B2C8: D0CB0028 000253F0
	v_add_u32_e32 v240, 64, v240                               // 00000000B2D0: 69E1E0C0
	s_nop 0                                                    // 00000000B2D4: BF800000
	v_cndmask_b32_e64 v132, v69, v132, s[40:41]                // 00000000B2D8: D1000084 00A30945
	v_cmp_le_u32_e64 s[40:41], v241, v41                       // 00000000B2E0: D0CB0028 000253F1
	v_add_u32_e32 v241, 64, v241                               // 00000000B2E8: 69E3E2C0
	s_nop 0                                                    // 00000000B2EC: BF800000
	v_cndmask_b32_e64 v133, v69, v133, s[40:41]                // 00000000B2F0: D1000085 00A30B45
	v_cmp_le_u32_e64 s[40:41], v242, v41                       // 00000000B2F8: D0CB0028 000253F2
	v_add_u32_e32 v242, 64, v242                               // 00000000B300: 69E5E4C0
	s_nop 0                                                    // 00000000B304: BF800000
	v_cndmask_b32_e64 v134, v69, v134, s[40:41]                // 00000000B308: D1000086 00A30D45
	v_cmp_le_u32_e64 s[40:41], v243, v41                       // 00000000B310: D0CB0028 000253F3
	v_add_u32_e32 v243, 64, v243                               // 00000000B318: 69E7E6C0
	s_nop 0                                                    // 00000000B31C: BF800000
	v_cndmask_b32_e64 v135, v69, v135, s[40:41]                // 00000000B320: D1000087 00A30F45
	v_cmp_le_u32_e64 s[40:41], v240, v41                       // 00000000B328: D0CB0028 000253F0
	v_add_u32_e32 v240, 64, v240                               // 00000000B330: 69E1E0C0
	s_nop 0                                                    // 00000000B334: BF800000
	v_cndmask_b32_e64 v136, v69, v136, s[40:41]                // 00000000B338: D1000088 00A31145
	v_cmp_le_u32_e64 s[40:41], v241, v41                       // 00000000B340: D0CB0028 000253F1
	v_add_u32_e32 v241, 64, v241                               // 00000000B348: 69E3E2C0
	s_nop 0                                                    // 00000000B34C: BF800000
	v_cndmask_b32_e64 v137, v69, v137, s[40:41]                // 00000000B350: D1000089 00A31345
	v_cmp_le_u32_e64 s[40:41], v242, v41                       // 00000000B358: D0CB0028 000253F2
	v_add_u32_e32 v242, 64, v242                               // 00000000B360: 69E5E4C0
	s_nop 0                                                    // 00000000B364: BF800000
	v_cndmask_b32_e64 v138, v69, v138, s[40:41]                // 00000000B368: D100008A 00A31545
	v_cmp_le_u32_e64 s[40:41], v243, v41                       // 00000000B370: D0CB0028 000253F3
	v_add_u32_e32 v243, 64, v243                               // 00000000B378: 69E7E6C0
	s_nop 0                                                    // 00000000B37C: BF800000
	v_cndmask_b32_e64 v139, v69, v139, s[40:41]                // 00000000B380: D100008B 00A31745
	v_cmp_le_u32_e64 s[40:41], v240, v41                       // 00000000B388: D0CB0028 000253F0
	v_add_u32_e32 v240, 64, v240                               // 00000000B390: 69E1E0C0
	s_nop 0                                                    // 00000000B394: BF800000
	v_cndmask_b32_e64 v140, v69, v140, s[40:41]                // 00000000B398: D100008C 00A31945
	v_cmp_le_u32_e64 s[40:41], v241, v41                       // 00000000B3A0: D0CB0028 000253F1
	v_add_u32_e32 v241, 64, v241                               // 00000000B3A8: 69E3E2C0
	s_nop 0                                                    // 00000000B3AC: BF800000
	v_cndmask_b32_e64 v141, v69, v141, s[40:41]                // 00000000B3B0: D100008D 00A31B45
	v_cmp_le_u32_e64 s[40:41], v242, v41                       // 00000000B3B8: D0CB0028 000253F2
	v_add_u32_e32 v242, 64, v242                               // 00000000B3C0: 69E5E4C0
	s_nop 0                                                    // 00000000B3C4: BF800000
	v_cndmask_b32_e64 v142, v69, v142, s[40:41]                // 00000000B3C8: D100008E 00A31D45
	v_cmp_le_u32_e64 s[40:41], v243, v41                       // 00000000B3D0: D0CB0028 000253F3
	v_add_u32_e32 v243, 64, v243                               // 00000000B3D8: 69E7E6C0
	s_nop 0                                                    // 00000000B3DC: BF800000
	v_cndmask_b32_e64 v143, v69, v143, s[40:41]                // 00000000B3E0: D100008F 00A31F45

000000000000b3e8 <label_247A>:
	v_mov_b32_e32 v62, v128                                    // 00000000B3E8: 7E7C0380
	v_max3_f32 v62, v128, v129, v62                            // 00000000B3EC: D1D3003E 04FB0380
	v_max3_f32 v62, v130, v131, v62                            // 00000000B3F4: D1D3003E 04FB0782
	v_max3_f32 v62, v132, v133, v62                            // 00000000B3FC: D1D3003E 04FB0B84
	v_max3_f32 v62, v134, v135, v62                            // 00000000B404: D1D3003E 04FB0F86
	v_max3_f32 v62, v136, v137, v62                            // 00000000B40C: D1D3003E 04FB1388
	v_max3_f32 v62, v138, v139, v62                            // 00000000B414: D1D3003E 04FB178A
	v_max3_f32 v62, v140, v141, v62                            // 00000000B41C: D1D3003E 04FB1B8C
	v_max3_f32 v62, v142, v143, v62                            // 00000000B424: D1D3003E 04FB1F8E
	ds_write_b32 v11, v62 offset:16896                         // 00000000B42C: D81A4200 00003E0B
	buffer_load_dwordx4 a[56:59], v32, s[16:19], 0 offen       // 00000000B434: E05C1000 80843820
	v_mul_u32_u24_dpp v41, v20, v68 row_newbcast:1 row_mask:0xf bank_mask:0xf// 00000000B43C: 105288FA FF015114
	v_mul_u32_u24_dpp v42, v20, v68 row_newbcast:5 row_mask:0xf bank_mask:0xf// 00000000B444: 105488FA FF015514
	v_mul_u32_u24_dpp v43, v20, v68 row_newbcast:9 row_mask:0xf bank_mask:0xf// 00000000B44C: 105688FA FF015914
	v_mul_u32_u24_dpp v44, v20, v68 row_newbcast:13 row_mask:0xf bank_mask:0xf// 00000000B454: 105888FA FF015D14
	v_add_u32_e32 v37, v41, v7                                 // 00000000B45C: 684A0F29
	v_add_u32_e32 v38, v42, v7                                 // 00000000B460: 684C0F2A
	v_add_u32_e32 v39, v43, v7                                 // 00000000B464: 684E0F2B
	v_add_u32_e32 v40, v44, v7                                 // 00000000B468: 68500F2C
	v_mul_f32_e32 v224, v63, v224                              // 00000000B46C: 0BC1C13F
	v_mul_f32_e32 v225, v63, v225                              // 00000000B470: 0BC3C33F
	v_mul_f32_e32 v226, v63, v226                              // 00000000B474: 0BC5C53F
	v_mul_f32_e32 v227, v63, v227                              // 00000000B478: 0BC7C73F
	v_mul_f32_e32 v228, v63, v228                              // 00000000B47C: 0BC9C93F
	v_mul_f32_e32 v229, v63, v229                              // 00000000B480: 0BCBCB3F
	v_mul_f32_e32 v230, v63, v230                              // 00000000B484: 0BCDCD3F
	v_mul_f32_e32 v231, v63, v231                              // 00000000B488: 0BCFCF3F
	s_waitcnt lgkmcnt(0)                                       // 00000000B48C: BF8CC07F
	s_barrier                                                  // 00000000B490: BF8A0000
	ds_read_b32 v80, v10 offset:16896                          // 00000000B494: D86C4200 5000000A
	ds_read_b32 v81, v10 offset:16960                          // 00000000B49C: D86C4240 5100000A
	ds_read_b32 v82, v10 offset:17024                          // 00000000B4A4: D86C4280 5200000A
	ds_read_b32 v83, v10 offset:17088                          // 00000000B4AC: D86C42C0 5300000A
	ds_read_b32 v84, v10 offset:17152                          // 00000000B4B4: D86C4300 5400000A
	ds_read_b32 v85, v10 offset:17216                          // 00000000B4BC: D86C4340 5500000A
	ds_read_b32 v86, v10 offset:17280                          // 00000000B4C4: D86C4380 5600000A
	ds_read_b32 v87, v10 offset:17344                          // 00000000B4CC: D86C43C0 5700000A
	ds_read_b32 v88, v10 offset:17408                          // 00000000B4D4: D86C4400 5800000A
	ds_read_b32 v89, v10 offset:17472                          // 00000000B4DC: D86C4440 5900000A
	ds_read_b32 v90, v10 offset:17536                          // 00000000B4E4: D86C4480 5A00000A
	ds_read_b32 v91, v10 offset:17600                          // 00000000B4EC: D86C44C0 5B00000A
	ds_read_b32 v92, v10 offset:17664                          // 00000000B4F4: D86C4500 5C00000A
	ds_read_b32 v93, v10 offset:17728                          // 00000000B4FC: D86C4540 5D00000A
	ds_read_b32 v94, v10 offset:17792                          // 00000000B504: D86C4580 5E00000A
	ds_read_b32 v95, v10 offset:17856                          // 00000000B50C: D86C45C0 5F00000A
	buffer_load_dwordx4 a[60:63], v32, s[16:19], 0 offen offset:1024// 00000000B514: E05C1400 80843C20
	v_mul_f32_e32 v192, v58, v192                              // 00000000B51C: 0B81813A
	v_mul_f32_e32 v193, v58, v193                              // 00000000B520: 0B83833A
	v_mul_f32_e32 v194, v58, v194                              // 00000000B524: 0B85853A
	v_mul_f32_e32 v195, v58, v195                              // 00000000B528: 0B87873A
	v_mul_f32_e32 v196, v58, v196                              // 00000000B52C: 0B89893A
	v_mul_f32_e32 v197, v58, v197                              // 00000000B530: 0B8B8B3A
	v_mul_f32_e32 v198, v58, v198                              // 00000000B534: 0B8D8D3A
	v_mul_f32_e32 v199, v58, v199                              // 00000000B538: 0B8F8F3A
	s_waitcnt lgkmcnt(0)                                       // 00000000B53C: BF8CC07F
	v_max3_f32 v62, v80, v81, v62                              // 00000000B540: D1D3003E 04FAA350
	v_max3_f32 v62, v82, v83, v62                              // 00000000B548: D1D3003E 04FAA752
	v_max3_f32 v62, v84, v85, v62                              // 00000000B550: D1D3003E 04FAAB54
	v_max3_f32 v62, v86, v87, v62                              // 00000000B558: D1D3003E 04FAAF56
	v_max3_f32 v62, v88, v89, v62                              // 00000000B560: D1D3003E 04FAB358
	v_max3_f32 v62, v90, v91, v62                              // 00000000B568: D1D3003E 04FAB75A
	v_max3_f32 v62, v92, v93, v62                              // 00000000B570: D1D3003E 04FABB5C
	v_max3_f32 v62, v94, v95, v62                              // 00000000B578: D1D3003E 04FABF5E
	buffer_load_dwordx4 a[96:99], v37, s[20:23], 0 offen       // 00000000B580: E05C1000 80856025
	v_mov_b32_e32 v41, 0xff800000                              // 00000000B588: 7E5202FF FF800000
	v_cmp_eq_u32_e64 s[40:41], v41, v14                        // 00000000B590: D0CA0028 00021D29
	s_nop 1                                                    // 00000000B598: BF800001
	v_max_f32_e32 v18, v62, v14                                // 00000000B59C: 16241D3E
	v_mul_f32_e32 v67, s64, v18                                // 00000000B5A0: 0A862440
	v_fma_f32 v128, v128, s64, -v67                            // 00000000B5A4: D1CB0080 850C8180
	v_fma_f32 v129, v129, s64, -v67                            // 00000000B5AC: D1CB0081 850C8181
	v_fma_f32 v130, v130, s64, -v67                            // 00000000B5B4: D1CB0082 850C8182
	v_fma_f32 v131, v131, s64, -v67                            // 00000000B5BC: D1CB0083 850C8183
	v_fma_f32 v132, v132, s64, -v67                            // 00000000B5C4: D1CB0084 850C8184
	v_fma_f32 v133, v133, s64, -v67                            // 00000000B5CC: D1CB0085 850C8185
	v_fma_f32 v134, v134, s64, -v67                            // 00000000B5D4: D1CB0086 850C8186
	v_fma_f32 v135, v135, s64, -v67                            // 00000000B5DC: D1CB0087 850C8187
	v_fma_f32 v136, v136, s64, -v67                            // 00000000B5E4: D1CB0088 850C8188
	v_fma_f32 v137, v137, s64, -v67                            // 00000000B5EC: D1CB0089 850C8189
	v_fma_f32 v138, v138, s64, -v67                            // 00000000B5F4: D1CB008A 850C818A
	v_fma_f32 v139, v139, s64, -v67                            // 00000000B5FC: D1CB008B 850C818B
	v_fma_f32 v140, v140, s64, -v67                            // 00000000B604: D1CB008C 850C818C
	v_fma_f32 v141, v141, s64, -v67                            // 00000000B60C: D1CB008D 850C818D
	v_fma_f32 v142, v142, s64, -v67                            // 00000000B614: D1CB008E 850C818E
	v_fma_f32 v143, v143, s64, -v67                            // 00000000B61C: D1CB008F 850C818F
	buffer_load_dwordx4 a[100:103], v38, s[20:23], 0 offen     // 00000000B624: E05C1000 80856426
	v_exp_f32_e32 v128, v128                                   // 00000000B62C: 7F004180
	v_exp_f32_e32 v129, v129                                   // 00000000B630: 7F024181
	v_exp_f32_e32 v130, v130                                   // 00000000B634: 7F044182
	v_exp_f32_e32 v131, v131                                   // 00000000B638: 7F064183
	v_exp_f32_e32 v132, v132                                   // 00000000B63C: 7F084184
	v_exp_f32_e32 v133, v133                                   // 00000000B640: 7F0A4185
	v_exp_f32_e32 v134, v134                                   // 00000000B644: 7F0C4186
	v_exp_f32_e32 v135, v135                                   // 00000000B648: 7F0E4187
	v_exp_f32_e32 v136, v136                                   // 00000000B64C: 7F104188
	v_exp_f32_e32 v137, v137                                   // 00000000B650: 7F124189
	v_exp_f32_e32 v138, v138                                   // 00000000B654: 7F14418A
	v_exp_f32_e32 v139, v139                                   // 00000000B658: 7F16418B
	v_exp_f32_e32 v140, v140                                   // 00000000B65C: 7F18418C
	v_exp_f32_e32 v141, v141                                   // 00000000B660: 7F1A418D
	v_exp_f32_e32 v142, v142                                   // 00000000B664: 7F1C418E
	v_exp_f32_e32 v143, v143                                   // 00000000B668: 7F1E418F
	buffer_load_dwordx4 a[104:107], v39, s[20:23], 0 offen     // 00000000B66C: E05C1000 80856827
	v_mul_f32_dpp v240, v252, v128 quad_perm:[0,0,0,0] row_mask:0xf bank_mask:0xf// 00000000B674: 0BE100FA FF0000FC
	v_mul_f32_dpp v241, v252, v129 quad_perm:[1,1,1,1] row_mask:0xf bank_mask:0xf// 00000000B67C: 0BE302FA FF0055FC
	v_mul_f32_dpp v242, v252, v130 quad_perm:[2,2,2,2] row_mask:0xf bank_mask:0xf// 00000000B684: 0BE504FA FF00AAFC
	v_mul_f32_dpp v243, v252, v131 quad_perm:[3,3,3,3] row_mask:0xf bank_mask:0xf// 00000000B68C: 0BE706FA FF00FFFC
	v_mul_f32_dpp v244, v253, v132 quad_perm:[0,0,0,0] row_mask:0xf bank_mask:0xf// 00000000B694: 0BE908FA FF0000FD
	v_mul_f32_dpp v245, v253, v133 quad_perm:[1,1,1,1] row_mask:0xf bank_mask:0xf// 00000000B69C: 0BEB0AFA FF0055FD
	v_mul_f32_dpp v246, v253, v134 quad_perm:[2,2,2,2] row_mask:0xf bank_mask:0xf// 00000000B6A4: 0BED0CFA FF00AAFD
	v_mul_f32_dpp v247, v253, v135 quad_perm:[3,3,3,3] row_mask:0xf bank_mask:0xf// 00000000B6AC: 0BEF0EFA FF00FFFD
	v_mul_f32_dpp v248, v254, v136 quad_perm:[0,0,0,0] row_mask:0xf bank_mask:0xf// 00000000B6B4: 0BF110FA FF0000FE
	v_mul_f32_dpp v249, v254, v137 quad_perm:[1,1,1,1] row_mask:0xf bank_mask:0xf// 00000000B6BC: 0BF312FA FF0055FE
	v_mul_f32_dpp v250, v254, v138 quad_perm:[2,2,2,2] row_mask:0xf bank_mask:0xf// 00000000B6C4: 0BF514FA FF00AAFE
	v_mul_f32_dpp v251, v254, v139 quad_perm:[3,3,3,3] row_mask:0xf bank_mask:0xf// 00000000B6CC: 0BF716FA FF00FFFE
	v_mul_f32_dpp v252, v255, v140 quad_perm:[0,0,0,0] row_mask:0xf bank_mask:0xf// 00000000B6D4: 0BF918FA FF0000FF
	v_mul_f32_dpp v253, v255, v141 quad_perm:[1,1,1,1] row_mask:0xf bank_mask:0xf// 00000000B6DC: 0BFB1AFA FF0055FF
	v_mul_f32_dpp v254, v255, v142 quad_perm:[2,2,2,2] row_mask:0xf bank_mask:0xf// 00000000B6E4: 0BFD1CFA FF00AAFF
	v_mul_f32_dpp v255, v255, v143 quad_perm:[3,3,3,3] row_mask:0xf bank_mask:0xf// 00000000B6EC: 0BFF1EFA FF00FFFF
	v_mov_b32_e32 v62, 0x358637bd                              // 00000000B6F4: 7E7C02FF 358637BD
	v_max3_f32 v62, |v240|, |v241|, v62                        // 00000000B6FC: D1D3033E 04FBE3F0
	v_max3_f32 v62, |v242|, |v243|, v62                        // 00000000B704: D1D3033E 04FBE7F2
	v_max3_f32 v62, |v244|, |v245|, v62                        // 00000000B70C: D1D3033E 04FBEBF4
	v_max3_f32 v62, |v246|, |v247|, v62                        // 00000000B714: D1D3033E 04FBEFF6
	v_max3_f32 v62, |v248|, |v249|, v62                        // 00000000B71C: D1D3033E 04FBF3F8
	v_max3_f32 v62, |v250|, |v251|, v62                        // 00000000B724: D1D3033E 04FBF7FA
	v_max3_f32 v62, |v252|, |v253|, v62                        // 00000000B72C: D1D3033E 04FBFBFC
	v_max3_f32 v62, |v254|, |v255|, v62                        // 00000000B734: D1D3033E 04FBFFFE
	buffer_load_dwordx4 a[108:111], v40, s[20:23], 0 offen     // 00000000B73C: E05C1000 80856C28
	ds_write_b32 v11, v62 offset:20992                         // 00000000B744: D81A5200 00003E0B
	v_sub_f32_e32 v63, v14, v18                                // 00000000B74C: 047E250E
	v_cndmask_b32_e64 v63, v63, 0, s[40:41]                    // 00000000B750: D100003F 00A1013F
	v_mov_b32_e32 v14, v18                                     // 00000000B758: 7E1C0312
	v_mul_f32_e32 v63, s64, v63                                // 00000000B75C: 0A7E7E40
	v_exp_f32_e32 v63, v63                                     // 00000000B760: 7E7E413F
	s_waitcnt lgkmcnt(0)                                       // 00000000B764: BF8CC07F
	s_barrier                                                  // 00000000B768: BF8A0000
	ds_read_b32 v80, v10 offset:20992                          // 00000000B76C: D86C5200 5000000A
	ds_read_b32 v81, v10 offset:21056                          // 00000000B774: D86C5240 5100000A
	ds_read_b32 v82, v10 offset:21120                          // 00000000B77C: D86C5280 5200000A
	ds_read_b32 v83, v10 offset:21184                          // 00000000B784: D86C52C0 5300000A
	ds_read_b32 v84, v10 offset:21248                          // 00000000B78C: D86C5300 5400000A
	ds_read_b32 v85, v10 offset:21312                          // 00000000B794: D86C5340 5500000A
	ds_read_b32 v86, v10 offset:21376                          // 00000000B79C: D86C5380 5600000A
	ds_read_b32 v87, v10 offset:21440                          // 00000000B7A4: D86C53C0 5700000A
	ds_read_b32 v88, v10 offset:21504                          // 00000000B7AC: D86C5400 5800000A
	ds_read_b32 v89, v10 offset:21568                          // 00000000B7B4: D86C5440 5900000A
	ds_read_b32 v90, v10 offset:21632                          // 00000000B7BC: D86C5480 5A00000A
	ds_read_b32 v91, v10 offset:21696                          // 00000000B7C4: D86C54C0 5B00000A
	ds_read_b32 v92, v10 offset:21760                          // 00000000B7CC: D86C5500 5C00000A
	ds_read_b32 v93, v10 offset:21824                          // 00000000B7D4: D86C5540 5D00000A
	ds_read_b32 v94, v10 offset:21888                          // 00000000B7DC: D86C5580 5E00000A
	ds_read_b32 v95, v10 offset:21952                          // 00000000B7E4: D86C55C0 5F00000A
	v_mul_f32_e32 v47, v63, v47                                // 00000000B7EC: 0A5E5F3F
	v_mov_b32_e32 v18, v128                                    // 00000000B7F0: 7E240380
	v_add_f32_e32 v18, v129, v18                               // 00000000B7F4: 02242581
	v_add_f32_e32 v18, v130, v18                               // 00000000B7F8: 02242582
	v_add_f32_e32 v18, v131, v18                               // 00000000B7FC: 02242583
	v_add_f32_e32 v18, v132, v18                               // 00000000B800: 02242584
	v_add_f32_e32 v18, v133, v18                               // 00000000B804: 02242585
	v_add_f32_e32 v18, v134, v18                               // 00000000B808: 02242586
	v_add_f32_e32 v18, v135, v18                               // 00000000B80C: 02242587
	v_add_f32_e32 v18, v136, v18                               // 00000000B810: 02242588
	v_add_f32_e32 v18, v137, v18                               // 00000000B814: 02242589
	v_add_f32_e32 v18, v138, v18                               // 00000000B818: 0224258A
	v_add_f32_e32 v18, v139, v18                               // 00000000B81C: 0224258B
	v_add_f32_e32 v18, v140, v18                               // 00000000B820: 0224258C
	v_add_f32_e32 v18, v141, v18                               // 00000000B824: 0224258D
	v_add_f32_e32 v18, v142, v18                               // 00000000B828: 0224258E
	v_add_f32_e32 v18, v143, v18                               // 00000000B82C: 0224258F
	v_add_f32_e32 v47, v18, v47                                // 00000000B830: 025E5F12
	s_waitcnt lgkmcnt(0)                                       // 00000000B834: BF8CC07F
	v_max3_f32 v62, |v80|, |v81|, v62                          // 00000000B838: D1D3033E 04FAA350
	v_max3_f32 v62, |v82|, |v83|, v62                          // 00000000B840: D1D3033E 04FAA752
	v_max3_f32 v62, |v84|, |v85|, v62                          // 00000000B848: D1D3033E 04FAAB54
	v_max3_f32 v62, |v86|, |v87|, v62                          // 00000000B850: D1D3033E 04FAAF56
	v_max3_f32 v62, |v88|, |v89|, v62                          // 00000000B858: D1D3033E 04FAB358
	v_max3_f32 v62, |v90|, |v91|, v62                          // 00000000B860: D1D3033E 04FAB75A
	v_max3_f32 v62, |v92|, |v93|, v62                          // 00000000B868: D1D3033E 04FABB5C
	v_max3_f32 v62, |v94|, |v95|, v62                          // 00000000B870: D1D3033E 04FABF5E
	s_nop 2                                                    // 00000000B878: BF800002
	v_rcp_f32_e32 v62, v62                                     // 00000000B87C: 7E7C453E
	s_nop 1                                                    // 00000000B880: BF800001
	v_mul_f32_e32 v62, 0x43e00000, v62                         // 00000000B884: 0A7C7CFF 43E00000
	v_mul_f32_e32 v128, v62, v240                              // 00000000B88C: 0B01E13E
	v_mul_f32_e32 v129, v62, v241                              // 00000000B890: 0B03E33E
	v_mul_f32_e32 v130, v62, v242                              // 00000000B894: 0B05E53E
	v_mul_f32_e32 v131, v62, v243                              // 00000000B898: 0B07E73E
	v_mul_f32_e32 v132, v62, v244                              // 00000000B89C: 0B09E93E
	v_mul_f32_e32 v133, v62, v245                              // 00000000B8A0: 0B0BEB3E
	v_mul_f32_e32 v134, v62, v246                              // 00000000B8A4: 0B0DED3E
	v_mul_f32_e32 v135, v62, v247                              // 00000000B8A8: 0B0FEF3E
	v_mul_f32_e32 v136, v62, v248                              // 00000000B8AC: 0B11F13E
	v_mul_f32_e32 v137, v62, v249                              // 00000000B8B0: 0B13F33E
	v_mul_f32_e32 v138, v62, v250                              // 00000000B8B4: 0B15F53E
	v_mul_f32_e32 v139, v62, v251                              // 00000000B8B8: 0B17F73E
	v_mul_f32_e32 v140, v62, v252                              // 00000000B8BC: 0B19F93E
	v_mul_f32_e32 v141, v62, v253                              // 00000000B8C0: 0B1BFB3E
	v_mul_f32_e32 v142, v62, v254                              // 00000000B8C4: 0B1DFD3E
	v_mul_f32_e32 v143, v62, v255                              // 00000000B8C8: 0B1FFF3E
	v_cvt_pk_fp8_f32 v128, v128, v129                          // 00000000B8CC: D2A20080 00030380
	v_cvt_pk_fp8_f32 v128, v130, v131 op_sel:[0,0,1]           // 00000000B8D4: D2A24080 00030782
	v_cvt_pk_fp8_f32 v129, v132, v133                          // 00000000B8DC: D2A20081 00030B84
	v_cvt_pk_fp8_f32 v129, v134, v135 op_sel:[0,0,1]           // 00000000B8E4: D2A24081 00030F86
	v_cvt_pk_fp8_f32 v130, v136, v137                          // 00000000B8EC: D2A20082 00031388
	v_cvt_pk_fp8_f32 v130, v138, v139 op_sel:[0,0,1]           // 00000000B8F4: D2A24082 0003178A
	v_cvt_pk_fp8_f32 v131, v140, v141                          // 00000000B8FC: D2A20083 00031B8C
	v_cvt_pk_fp8_f32 v131, v142, v143 op_sel:[0,0,1]           // 00000000B904: D2A24083 00031F8E
	ds_write_b32 v13, v128 offset:25088                        // 00000000B90C: D81A6200 0000800D
	ds_write_b32 v13, v129 offset:26112                        // 00000000B914: D81A6600 0000810D
	ds_write_b32 v13, v130 offset:27136                        // 00000000B91C: D81A6A00 0000820D
	ds_write_b32 v13, v131 offset:28160                        // 00000000B924: D81A6E00 0000830D
	v_add_f32_e32 v224, v224, v192                             // 00000000B92C: 03C181E0
	v_add_f32_e32 v225, v225, v193                             // 00000000B930: 03C383E1
	v_add_f32_e32 v226, v226, v194                             // 00000000B934: 03C585E2
	v_add_f32_e32 v227, v227, v195                             // 00000000B938: 03C787E3
	v_add_f32_e32 v228, v228, v196                             // 00000000B93C: 03C989E4
	v_add_f32_e32 v229, v229, v197                             // 00000000B940: 03CB8BE5
	v_add_f32_e32 v230, v230, v198                             // 00000000B944: 03CD8DE6
	v_add_f32_e32 v231, v231, v199                             // 00000000B948: 03CF8FE7
	v_rcp_f32_e32 v58, v62                                     // 00000000B94C: 7E74453E
	s_waitcnt lgkmcnt(0)                                       // 00000000B950: BF8CC07F
	s_barrier                                                  // 00000000B954: BF8A0000
	ds_read_b64 v[128:129], v12 offset:25088                   // 00000000B958: D8EC6200 8000000C
	ds_read_b64 v[130:131], v12 offset:25216                   // 00000000B960: D8EC6280 8200000C
	ds_read_b64 v[132:133], v12 offset:26112                   // 00000000B968: D8EC6600 8400000C
	ds_read_b64 v[134:135], v12 offset:26240                   // 00000000B970: D8EC6680 8600000C
	ds_read_b64 v[136:137], v12 offset:27136                   // 00000000B978: D8EC6A00 8800000C
	ds_read_b64 v[138:139], v12 offset:27264                   // 00000000B980: D8EC6A80 8A00000C
	ds_read_b64 v[140:141], v12 offset:28160                   // 00000000B988: D8EC6E00 8C00000C
	ds_read_b64 v[142:143], v12 offset:28288                   // 00000000B990: D8EC6E80 8E00000C
	v_mov_b32_dpp v41, v52 row_shr:4 row_mask:0xf bank_mask:0xf// 00000000B998: 7E5202FA FF011434
	v_mov_b32_dpp v42, v52 row_shl:4 row_mask:0xf bank_mask:0xf// 00000000B9A0: 7E5402FA FF010434
	v_cndmask_b32_e64 v248, v52, v41, s[44:45]                 // 00000000B9A8: D10000F8 00B25334
	v_cndmask_b32_e64 v249, v42, v52, s[44:45]                 // 00000000B9B0: D10000F9 00B2692A
	v_mov_b32_dpp v41, v248 row_shr:8 row_mask:0xf bank_mask:0xf// 00000000B9B8: 7E5202FA FF0118F8
	v_mov_b32_dpp v42, v248 row_shl:8 row_mask:0xf bank_mask:0xf// 00000000B9C0: 7E5402FA FF0108F8
	v_mov_b32_dpp v43, v249 row_shr:8 row_mask:0xf bank_mask:0xf// 00000000B9C8: 7E5602FA FF0118F9
	v_mov_b32_dpp v44, v249 row_shl:8 row_mask:0xf bank_mask:0xf// 00000000B9D0: 7E5802FA FF0108F9
	v_mov_b32_e32 v45, v248                                    // 00000000B9D8: 7E5A03F8
	v_mov_b32_e32 v46, v249                                    // 00000000B9DC: 7E5C03F9
	v_cndmask_b32_e64 v248, v45, v41, s[42:43]                 // 00000000B9E0: D10000F8 00AA532D
	v_cndmask_b32_e64 v250, v45, v42, s[78:79]                 // 00000000B9E8: D10000FA 013A552D
	v_cndmask_b32_e64 v249, v46, v43, s[42:43]                 // 00000000B9F0: D10000F9 00AA572E
	v_cndmask_b32_e64 v251, v46, v44, s[78:79]                 // 00000000B9F8: D10000FB 013A592E
	v_mov_b32_dpp v41, v72 row_shr:4 row_mask:0xf bank_mask:0xf// 00000000BA00: 7E5202FA FF011448
	v_mov_b32_dpp v42, v72 row_shl:4 row_mask:0xf bank_mask:0xf// 00000000BA08: 7E5402FA FF010448
	v_cndmask_b32_e64 v252, v72, v41, s[44:45]                 // 00000000BA10: D10000FC 00B25348
	v_cndmask_b32_e64 v253, v42, v72, s[44:45]                 // 00000000BA18: D10000FD 00B2912A
	v_mov_b32_dpp v41, v252 row_shr:8 row_mask:0xf bank_mask:0xf// 00000000BA20: 7E5202FA FF0118FC
	v_mov_b32_dpp v42, v252 row_shl:8 row_mask:0xf bank_mask:0xf// 00000000BA28: 7E5402FA FF0108FC
	v_mov_b32_dpp v43, v253 row_shr:8 row_mask:0xf bank_mask:0xf// 00000000BA30: 7E5602FA FF0118FD
	v_mov_b32_dpp v44, v253 row_shl:8 row_mask:0xf bank_mask:0xf// 00000000BA38: 7E5802FA FF0108FD
	v_mov_b32_e32 v45, v252                                    // 00000000BA40: 7E5A03FC
	v_mov_b32_e32 v46, v253                                    // 00000000BA44: 7E5C03FD
	v_cndmask_b32_e64 v252, v45, v41, s[42:43]                 // 00000000BA48: D10000FC 00AA532D
	v_cndmask_b32_e64 v254, v45, v42, s[78:79]                 // 00000000BA50: D10000FE 013A552D
	v_cndmask_b32_e64 v253, v46, v43, s[42:43]                 // 00000000BA58: D10000FD 00AA572E
	v_cndmask_b32_e64 v255, v46, v44, s[78:79]                 // 00000000BA60: D10000FF 013A592E
	v_mul_f32_e32 v144, v55, v144                              // 00000000BA68: 0B212137
	v_mul_f32_e32 v145, v55, v145                              // 00000000BA6C: 0B232337
	v_mul_f32_e32 v146, v55, v146                              // 00000000BA70: 0B252537
	v_mul_f32_e32 v147, v55, v147                              // 00000000BA74: 0B272737
	v_mul_f32_e32 v148, v55, v148                              // 00000000BA78: 0B292937
	v_mul_f32_e32 v149, v55, v149                              // 00000000BA7C: 0B2B2B37
	v_mul_f32_e32 v150, v55, v150                              // 00000000BA80: 0B2D2D37
	v_mul_f32_e32 v151, v55, v151                              // 00000000BA84: 0B2F2F37
	v_mul_f32_e32 v152, v55, v152                              // 00000000BA88: 0B313137
	v_mul_f32_e32 v153, v55, v153                              // 00000000BA8C: 0B333337
	v_mul_f32_e32 v154, v55, v154                              // 00000000BA90: 0B353537
	v_mul_f32_e32 v155, v55, v155                              // 00000000BA94: 0B373737
	v_mul_f32_e32 v156, v55, v156                              // 00000000BA98: 0B393937
	v_mul_f32_e32 v157, v55, v157                              // 00000000BA9C: 0B3B3B37
	v_mul_f32_e32 v158, v55, v158                              // 00000000BAA0: 0B3D3D37
	v_mul_f32_e32 v159, v55, v159                              // 00000000BAA4: 0B3F3F37
	v_mul_f32_dpp v144, v248, v144 quad_perm:[0,0,0,0] row_mask:0xf bank_mask:0xf// 00000000BAA8: 0B2120FA FF0000F8
	v_mul_f32_dpp v145, v248, v145 quad_perm:[1,1,1,1] row_mask:0xf bank_mask:0xf// 00000000BAB0: 0B2322FA FF0055F8
	v_mul_f32_dpp v146, v248, v146 quad_perm:[2,2,2,2] row_mask:0xf bank_mask:0xf// 00000000BAB8: 0B2524FA FF00AAF8
	v_mul_f32_dpp v147, v248, v147 quad_perm:[3,3,3,3] row_mask:0xf bank_mask:0xf// 00000000BAC0: 0B2726FA FF00FFF8
	v_mul_f32_dpp v148, v249, v148 quad_perm:[0,0,0,0] row_mask:0xf bank_mask:0xf// 00000000BAC8: 0B2928FA FF0000F9
	v_mul_f32_dpp v149, v249, v149 quad_perm:[1,1,1,1] row_mask:0xf bank_mask:0xf// 00000000BAD0: 0B2B2AFA FF0055F9
	v_mul_f32_dpp v150, v249, v150 quad_perm:[2,2,2,2] row_mask:0xf bank_mask:0xf// 00000000BAD8: 0B2D2CFA FF00AAF9
	v_mul_f32_dpp v151, v249, v151 quad_perm:[3,3,3,3] row_mask:0xf bank_mask:0xf// 00000000BAE0: 0B2F2EFA FF00FFF9
	v_mul_f32_dpp v152, v250, v152 quad_perm:[0,0,0,0] row_mask:0xf bank_mask:0xf// 00000000BAE8: 0B3130FA FF0000FA
	v_mul_f32_dpp v153, v250, v153 quad_perm:[1,1,1,1] row_mask:0xf bank_mask:0xf// 00000000BAF0: 0B3332FA FF0055FA
	v_mul_f32_dpp v154, v250, v154 quad_perm:[2,2,2,2] row_mask:0xf bank_mask:0xf// 00000000BAF8: 0B3534FA FF00AAFA
	v_mul_f32_dpp v155, v250, v155 quad_perm:[3,3,3,3] row_mask:0xf bank_mask:0xf// 00000000BB00: 0B3736FA FF00FFFA
	v_mul_f32_dpp v156, v251, v156 quad_perm:[0,0,0,0] row_mask:0xf bank_mask:0xf// 00000000BB08: 0B3938FA FF0000FB
	v_mul_f32_dpp v157, v251, v157 quad_perm:[1,1,1,1] row_mask:0xf bank_mask:0xf// 00000000BB10: 0B3B3AFA FF0055FB
	v_mul_f32_dpp v158, v251, v158 quad_perm:[2,2,2,2] row_mask:0xf bank_mask:0xf// 00000000BB18: 0B3D3CFA FF00AAFB
	v_mul_f32_dpp v159, v251, v159 quad_perm:[3,3,3,3] row_mask:0xf bank_mask:0xf// 00000000BB20: 0B3F3EFA FF00FFFB
	s_cmp_le_i32 s90, s89                                      // 00000000BB28: BF05595A
	s_cbranch_scc1 label_26BF                                  // 00000000BB2C: BF850073
	v_mov_b32_e32 v69, 0xff800000                              // 00000000BB30: 7E8A02FF FF800000
	s_mov_b32 s60, s90                                         // 00000000BB38: BEBC005A
	s_add_u32 s61, s89, 0xff                                   // 00000000BB3C: 803DFF59 000000FF
	v_mov_b32_e32 v41, s61                                     // 00000000BB44: 7E52023D
	v_lshrrev_b32_e32 v240, 4, v0                              // 00000000BB48: 21E00084
	v_mul_i32_i24_e32 v240, 4, v240                            // 00000000BB4C: 0DE1E084
	v_add_u32_e32 v240, s60, v240                              // 00000000BB50: 69E1E03C
	v_and_b32_e32 v42, 15, v0                                  // 00000000BB54: 2654008F
	v_lshrrev_b32_e32 v42, 3, v42                              // 00000000BB58: 20545483
	s_mov_b32 s61, 2                                           // 00000000BB5C: BEBD0082
	s_mul_i32 s60, 16, s7                                      // 00000000BB60: 923C0790
	v_add_u32_e32 v42, s61, v42                                // 00000000BB64: 6854543D
	v_sub_u32_e32 v240, v240, v42                              // 00000000BB68: 6BE055F0
	v_add_u32_e32 v240, s60, v240                              // 00000000BB6C: 69E1E03C
	v_add_u32_e32 v241, 1, v240                                // 00000000BB70: 69E3E081
	v_add_u32_e32 v242, 2, v240                                // 00000000BB74: 69E5E082
	v_add_u32_e32 v243, 3, v240                                // 00000000BB78: 69E7E083
	v_cmp_le_u32_e64 s[40:41], v240, v41                       // 00000000BB7C: D0CB0028 000253F0
	v_add_u32_e32 v240, 64, v240                               // 00000000BB84: 69E1E0C0
	s_nop 0                                                    // 00000000BB88: BF800000
	v_cndmask_b32_e64 v144, v69, v144, s[40:41]                // 00000000BB8C: D1000090 00A32145
	v_cmp_le_u32_e64 s[40:41], v241, v41                       // 00000000BB94: D0CB0028 000253F1
	v_add_u32_e32 v241, 64, v241                               // 00000000BB9C: 69E3E2C0
	s_nop 0                                                    // 00000000BBA0: BF800000
	v_cndmask_b32_e64 v145, v69, v145, s[40:41]                // 00000000BBA4: D1000091 00A32345
	v_cmp_le_u32_e64 s[40:41], v242, v41                       // 00000000BBAC: D0CB0028 000253F2
	v_add_u32_e32 v242, 64, v242                               // 00000000BBB4: 69E5E4C0
	s_nop 0                                                    // 00000000BBB8: BF800000
	v_cndmask_b32_e64 v146, v69, v146, s[40:41]                // 00000000BBBC: D1000092 00A32545
	v_cmp_le_u32_e64 s[40:41], v243, v41                       // 00000000BBC4: D0CB0028 000253F3
	v_add_u32_e32 v243, 64, v243                               // 00000000BBCC: 69E7E6C0
	s_nop 0                                                    // 00000000BBD0: BF800000
	v_cndmask_b32_e64 v147, v69, v147, s[40:41]                // 00000000BBD4: D1000093 00A32745
	v_cmp_le_u32_e64 s[40:41], v240, v41                       // 00000000BBDC: D0CB0028 000253F0
	v_add_u32_e32 v240, 64, v240                               // 00000000BBE4: 69E1E0C0
	s_nop 0                                                    // 00000000BBE8: BF800000
	v_cndmask_b32_e64 v148, v69, v148, s[40:41]                // 00000000BBEC: D1000094 00A32945
	v_cmp_le_u32_e64 s[40:41], v241, v41                       // 00000000BBF4: D0CB0028 000253F1
	v_add_u32_e32 v241, 64, v241                               // 00000000BBFC: 69E3E2C0
	s_nop 0                                                    // 00000000BC00: BF800000
	v_cndmask_b32_e64 v149, v69, v149, s[40:41]                // 00000000BC04: D1000095 00A32B45
	v_cmp_le_u32_e64 s[40:41], v242, v41                       // 00000000BC0C: D0CB0028 000253F2
	v_add_u32_e32 v242, 64, v242                               // 00000000BC14: 69E5E4C0
	s_nop 0                                                    // 00000000BC18: BF800000
	v_cndmask_b32_e64 v150, v69, v150, s[40:41]                // 00000000BC1C: D1000096 00A32D45
	v_cmp_le_u32_e64 s[40:41], v243, v41                       // 00000000BC24: D0CB0028 000253F3
	v_add_u32_e32 v243, 64, v243                               // 00000000BC2C: 69E7E6C0
	s_nop 0                                                    // 00000000BC30: BF800000
	v_cndmask_b32_e64 v151, v69, v151, s[40:41]                // 00000000BC34: D1000097 00A32F45
	v_cmp_le_u32_e64 s[40:41], v240, v41                       // 00000000BC3C: D0CB0028 000253F0
	v_add_u32_e32 v240, 64, v240                               // 00000000BC44: 69E1E0C0
	s_nop 0                                                    // 00000000BC48: BF800000
	v_cndmask_b32_e64 v152, v69, v152, s[40:41]                // 00000000BC4C: D1000098 00A33145
	v_cmp_le_u32_e64 s[40:41], v241, v41                       // 00000000BC54: D0CB0028 000253F1
	v_add_u32_e32 v241, 64, v241                               // 00000000BC5C: 69E3E2C0
	s_nop 0                                                    // 00000000BC60: BF800000
	v_cndmask_b32_e64 v153, v69, v153, s[40:41]                // 00000000BC64: D1000099 00A33345
	v_cmp_le_u32_e64 s[40:41], v242, v41                       // 00000000BC6C: D0CB0028 000253F2
	v_add_u32_e32 v242, 64, v242                               // 00000000BC74: 69E5E4C0
	s_nop 0                                                    // 00000000BC78: BF800000
	v_cndmask_b32_e64 v154, v69, v154, s[40:41]                // 00000000BC7C: D100009A 00A33545
	v_cmp_le_u32_e64 s[40:41], v243, v41                       // 00000000BC84: D0CB0028 000253F3
	v_add_u32_e32 v243, 64, v243                               // 00000000BC8C: 69E7E6C0
	s_nop 0                                                    // 00000000BC90: BF800000
	v_cndmask_b32_e64 v155, v69, v155, s[40:41]                // 00000000BC94: D100009B 00A33745
	v_cmp_le_u32_e64 s[40:41], v240, v41                       // 00000000BC9C: D0CB0028 000253F0
	v_add_u32_e32 v240, 64, v240                               // 00000000BCA4: 69E1E0C0
	s_nop 0                                                    // 00000000BCA8: BF800000
	v_cndmask_b32_e64 v156, v69, v156, s[40:41]                // 00000000BCAC: D100009C 00A33945
	v_cmp_le_u32_e64 s[40:41], v241, v41                       // 00000000BCB4: D0CB0028 000253F1
	v_add_u32_e32 v241, 64, v241                               // 00000000BCBC: 69E3E2C0
	s_nop 0                                                    // 00000000BCC0: BF800000
	v_cndmask_b32_e64 v157, v69, v157, s[40:41]                // 00000000BCC4: D100009D 00A33B45
	v_cmp_le_u32_e64 s[40:41], v242, v41                       // 00000000BCCC: D0CB0028 000253F2
	v_add_u32_e32 v242, 64, v242                               // 00000000BCD4: 69E5E4C0
	s_nop 0                                                    // 00000000BCD8: BF800000
	v_cndmask_b32_e64 v158, v69, v158, s[40:41]                // 00000000BCDC: D100009E 00A33D45
	v_cmp_le_u32_e64 s[40:41], v243, v41                       // 00000000BCE4: D0CB0028 000253F3
	v_add_u32_e32 v243, 64, v243                               // 00000000BCEC: 69E7E6C0
	s_nop 0                                                    // 00000000BCF0: BF800000
	v_cndmask_b32_e64 v159, v69, v159, s[40:41]                // 00000000BCF4: D100009F 00A33F45

000000000000bcfc <label_26BF>:
	s_add_u32 s90, s91, s90                                    // 00000000BCFC: 805A5A5B
	v_mov_b32_e32 v62, v144                                    // 00000000BD00: 7E7C0390
	v_max3_f32 v62, v144, v145, v62                            // 00000000BD04: D1D3003E 04FB2390
	v_max3_f32 v62, v146, v147, v62                            // 00000000BD0C: D1D3003E 04FB2792
	v_max3_f32 v62, v148, v149, v62                            // 00000000BD14: D1D3003E 04FB2B94
	v_max3_f32 v62, v150, v151, v62                            // 00000000BD1C: D1D3003E 04FB2F96
	v_max3_f32 v62, v152, v153, v62                            // 00000000BD24: D1D3003E 04FB3398
	v_max3_f32 v62, v154, v155, v62                            // 00000000BD2C: D1D3003E 04FB379A
	v_max3_f32 v62, v156, v157, v62                            // 00000000BD34: D1D3003E 04FB3B9C
	v_max3_f32 v62, v158, v159, v62                            // 00000000BD3C: D1D3003E 04FB3F9E
	ds_write_b32 v11, v62 offset:16896                         // 00000000BD44: D81A4200 00003E0B
	v_mul_f32_e32 v232, v64, v232                              // 00000000BD4C: 0BD1D140
	v_mul_f32_e32 v233, v64, v233                              // 00000000BD50: 0BD3D340
	v_mul_f32_e32 v234, v64, v234                              // 00000000BD54: 0BD5D540
	v_mul_f32_e32 v235, v64, v235                              // 00000000BD58: 0BD7D740
	v_mul_f32_e32 v236, v64, v236                              // 00000000BD5C: 0BD9D940
	v_mul_f32_e32 v237, v64, v237                              // 00000000BD60: 0BDBDB40
	v_mul_f32_e32 v238, v64, v238                              // 00000000BD64: 0BDDDD40
	v_mul_f32_e32 v239, v64, v239                              // 00000000BD68: 0BDFDF40
	s_waitcnt lgkmcnt(0)                                       // 00000000BD6C: BF8CC07F
	s_barrier                                                  // 00000000BD70: BF8A0000
	ds_read_b32 v80, v10 offset:16896                          // 00000000BD74: D86C4200 5000000A
	ds_read_b32 v81, v10 offset:16960                          // 00000000BD7C: D86C4240 5100000A
	ds_read_b32 v82, v10 offset:17024                          // 00000000BD84: D86C4280 5200000A
	ds_read_b32 v83, v10 offset:17088                          // 00000000BD8C: D86C42C0 5300000A
	ds_read_b32 v84, v10 offset:17152                          // 00000000BD94: D86C4300 5400000A
	ds_read_b32 v85, v10 offset:17216                          // 00000000BD9C: D86C4340 5500000A
	ds_read_b32 v86, v10 offset:17280                          // 00000000BDA4: D86C4380 5600000A
	ds_read_b32 v87, v10 offset:17344                          // 00000000BDAC: D86C43C0 5700000A
	ds_read_b32 v88, v10 offset:17408                          // 00000000BDB4: D86C4400 5800000A
	ds_read_b32 v89, v10 offset:17472                          // 00000000BDBC: D86C4440 5900000A
	ds_read_b32 v90, v10 offset:17536                          // 00000000BDC4: D86C4480 5A00000A
	ds_read_b32 v91, v10 offset:17600                          // 00000000BDCC: D86C44C0 5B00000A
	ds_read_b32 v92, v10 offset:17664                          // 00000000BDD4: D86C4500 5C00000A
	ds_read_b32 v93, v10 offset:17728                          // 00000000BDDC: D86C4540 5D00000A
	ds_read_b32 v94, v10 offset:17792                          // 00000000BDE4: D86C4580 5E00000A
	ds_read_b32 v95, v10 offset:17856                          // 00000000BDEC: D86C45C0 5F00000A
	v_mul_f32_e32 v200, v59, v200                              // 00000000BDF4: 0B91913B
	v_mul_f32_e32 v201, v59, v201                              // 00000000BDF8: 0B93933B
	v_mul_f32_e32 v202, v59, v202                              // 00000000BDFC: 0B95953B
	v_mul_f32_e32 v203, v59, v203                              // 00000000BE00: 0B97973B
	v_mul_f32_e32 v204, v59, v204                              // 00000000BE04: 0B99993B
	v_mul_f32_e32 v205, v59, v205                              // 00000000BE08: 0B9B9B3B
	v_mul_f32_e32 v206, v59, v206                              // 00000000BE0C: 0B9D9D3B
	v_mul_f32_e32 v207, v59, v207                              // 00000000BE10: 0B9F9F3B
	s_waitcnt lgkmcnt(0)                                       // 00000000BE14: BF8CC07F
	v_max3_f32 v62, v80, v81, v62                              // 00000000BE18: D1D3003E 04FAA350
	v_max3_f32 v62, v82, v83, v62                              // 00000000BE20: D1D3003E 04FAA752
	v_max3_f32 v62, v84, v85, v62                              // 00000000BE28: D1D3003E 04FAAB54
	v_max3_f32 v62, v86, v87, v62                              // 00000000BE30: D1D3003E 04FAAF56
	v_max3_f32 v62, v88, v89, v62                              // 00000000BE38: D1D3003E 04FAB358
	v_max3_f32 v62, v90, v91, v62                              // 00000000BE40: D1D3003E 04FAB75A
	v_max3_f32 v62, v92, v93, v62                              // 00000000BE48: D1D3003E 04FABB5C
	v_max3_f32 v62, v94, v95, v62                              // 00000000BE50: D1D3003E 04FABF5E
	v_mov_b32_e32 v41, 0xff800000                              // 00000000BE58: 7E5202FF FF800000
	v_cmp_eq_u32_e64 s[40:41], v41, v15                        // 00000000BE60: D0CA0028 00021F29
	s_nop 1                                                    // 00000000BE68: BF800001
	v_max_f32_e32 v18, v62, v15                                // 00000000BE6C: 16241F3E
	v_mul_f32_e32 v67, s64, v18                                // 00000000BE70: 0A862440
	v_fma_f32 v144, v144, s64, -v67                            // 00000000BE74: D1CB0090 850C8190
	v_fma_f32 v145, v145, s64, -v67                            // 00000000BE7C: D1CB0091 850C8191
	v_fma_f32 v146, v146, s64, -v67                            // 00000000BE84: D1CB0092 850C8192
	v_fma_f32 v147, v147, s64, -v67                            // 00000000BE8C: D1CB0093 850C8193
	v_fma_f32 v148, v148, s64, -v67                            // 00000000BE94: D1CB0094 850C8194
	v_fma_f32 v149, v149, s64, -v67                            // 00000000BE9C: D1CB0095 850C8195
	v_fma_f32 v150, v150, s64, -v67                            // 00000000BEA4: D1CB0096 850C8196
	v_fma_f32 v151, v151, s64, -v67                            // 00000000BEAC: D1CB0097 850C8197
	v_fma_f32 v152, v152, s64, -v67                            // 00000000BEB4: D1CB0098 850C8198
	v_fma_f32 v153, v153, s64, -v67                            // 00000000BEBC: D1CB0099 850C8199
	v_fma_f32 v154, v154, s64, -v67                            // 00000000BEC4: D1CB009A 850C819A
	v_fma_f32 v155, v155, s64, -v67                            // 00000000BECC: D1CB009B 850C819B
	v_fma_f32 v156, v156, s64, -v67                            // 00000000BED4: D1CB009C 850C819C
	v_fma_f32 v157, v157, s64, -v67                            // 00000000BEDC: D1CB009D 850C819D
	v_fma_f32 v158, v158, s64, -v67                            // 00000000BEE4: D1CB009E 850C819E
	v_fma_f32 v159, v159, s64, -v67                            // 00000000BEEC: D1CB009F 850C819F
	v_exp_f32_e32 v144, v144                                   // 00000000BEF4: 7F204190
	v_exp_f32_e32 v145, v145                                   // 00000000BEF8: 7F224191
	v_exp_f32_e32 v146, v146                                   // 00000000BEFC: 7F244192
	v_exp_f32_e32 v147, v147                                   // 00000000BF00: 7F264193
	v_exp_f32_e32 v148, v148                                   // 00000000BF04: 7F284194
	v_exp_f32_e32 v149, v149                                   // 00000000BF08: 7F2A4195
	v_exp_f32_e32 v150, v150                                   // 00000000BF0C: 7F2C4196
	v_exp_f32_e32 v151, v151                                   // 00000000BF10: 7F2E4197
	v_exp_f32_e32 v152, v152                                   // 00000000BF14: 7F304198
	v_exp_f32_e32 v153, v153                                   // 00000000BF18: 7F324199
	v_exp_f32_e32 v154, v154                                   // 00000000BF1C: 7F34419A
	v_exp_f32_e32 v155, v155                                   // 00000000BF20: 7F36419B
	v_exp_f32_e32 v156, v156                                   // 00000000BF24: 7F38419C
	v_exp_f32_e32 v157, v157                                   // 00000000BF28: 7F3A419D
	v_exp_f32_e32 v158, v158                                   // 00000000BF2C: 7F3C419E
	v_exp_f32_e32 v159, v159                                   // 00000000BF30: 7F3E419F
	v_mul_f32_dpp v240, v252, v144 quad_perm:[0,0,0,0] row_mask:0xf bank_mask:0xf// 00000000BF34: 0BE120FA FF0000FC
	v_mul_f32_dpp v241, v252, v145 quad_perm:[1,1,1,1] row_mask:0xf bank_mask:0xf// 00000000BF3C: 0BE322FA FF0055FC
	v_mul_f32_dpp v242, v252, v146 quad_perm:[2,2,2,2] row_mask:0xf bank_mask:0xf// 00000000BF44: 0BE524FA FF00AAFC
	v_mul_f32_dpp v243, v252, v147 quad_perm:[3,3,3,3] row_mask:0xf bank_mask:0xf// 00000000BF4C: 0BE726FA FF00FFFC
	v_mul_f32_dpp v244, v253, v148 quad_perm:[0,0,0,0] row_mask:0xf bank_mask:0xf// 00000000BF54: 0BE928FA FF0000FD
	v_mul_f32_dpp v245, v253, v149 quad_perm:[1,1,1,1] row_mask:0xf bank_mask:0xf// 00000000BF5C: 0BEB2AFA FF0055FD
	v_mul_f32_dpp v246, v253, v150 quad_perm:[2,2,2,2] row_mask:0xf bank_mask:0xf// 00000000BF64: 0BED2CFA FF00AAFD
	v_mul_f32_dpp v247, v253, v151 quad_perm:[3,3,3,3] row_mask:0xf bank_mask:0xf// 00000000BF6C: 0BEF2EFA FF00FFFD
	v_mul_f32_dpp v248, v254, v152 quad_perm:[0,0,0,0] row_mask:0xf bank_mask:0xf// 00000000BF74: 0BF130FA FF0000FE
	v_mul_f32_dpp v249, v254, v153 quad_perm:[1,1,1,1] row_mask:0xf bank_mask:0xf// 00000000BF7C: 0BF332FA FF0055FE
	v_mul_f32_dpp v250, v254, v154 quad_perm:[2,2,2,2] row_mask:0xf bank_mask:0xf// 00000000BF84: 0BF534FA FF00AAFE
	v_mul_f32_dpp v251, v254, v155 quad_perm:[3,3,3,3] row_mask:0xf bank_mask:0xf// 00000000BF8C: 0BF736FA FF00FFFE
	v_mul_f32_dpp v252, v255, v156 quad_perm:[0,0,0,0] row_mask:0xf bank_mask:0xf// 00000000BF94: 0BF938FA FF0000FF
	v_mul_f32_dpp v253, v255, v157 quad_perm:[1,1,1,1] row_mask:0xf bank_mask:0xf// 00000000BF9C: 0BFB3AFA FF0055FF
	v_mul_f32_dpp v254, v255, v158 quad_perm:[2,2,2,2] row_mask:0xf bank_mask:0xf// 00000000BFA4: 0BFD3CFA FF00AAFF
	v_mul_f32_dpp v255, v255, v159 quad_perm:[3,3,3,3] row_mask:0xf bank_mask:0xf// 00000000BFAC: 0BFF3EFA FF00FFFF
	v_mov_b32_e32 v62, 0x358637bd                              // 00000000BFB4: 7E7C02FF 358637BD
	v_max3_f32 v62, |v240|, |v241|, v62                        // 00000000BFBC: D1D3033E 04FBE3F0
	v_max3_f32 v62, |v242|, |v243|, v62                        // 00000000BFC4: D1D3033E 04FBE7F2
	v_max3_f32 v62, |v244|, |v245|, v62                        // 00000000BFCC: D1D3033E 04FBEBF4
	v_max3_f32 v62, |v246|, |v247|, v62                        // 00000000BFD4: D1D3033E 04FBEFF6
	v_max3_f32 v62, |v248|, |v249|, v62                        // 00000000BFDC: D1D3033E 04FBF3F8
	v_max3_f32 v62, |v250|, |v251|, v62                        // 00000000BFE4: D1D3033E 04FBF7FA
	v_max3_f32 v62, |v252|, |v253|, v62                        // 00000000BFEC: D1D3033E 04FBFBFC
	v_max3_f32 v62, |v254|, |v255|, v62                        // 00000000BFF4: D1D3033E 04FBFFFE
	ds_write_b32 v11, v62 offset:20992                         // 00000000BFFC: D81A5200 00003E0B
	v_sub_f32_e32 v64, v15, v18                                // 00000000C004: 0480250F
	v_cndmask_b32_e64 v64, v64, 0, s[40:41]                    // 00000000C008: D1000040 00A10140
	v_mov_b32_e32 v15, v18                                     // 00000000C010: 7E1E0312
	v_mul_f32_e32 v64, s64, v64                                // 00000000C014: 0A808040
	v_exp_f32_e32 v64, v64                                     // 00000000C018: 7E804140
	s_waitcnt lgkmcnt(0)                                       // 00000000C01C: BF8CC07F
	s_barrier                                                  // 00000000C020: BF8A0000
	ds_read_b32 v80, v10 offset:20992                          // 00000000C024: D86C5200 5000000A
	ds_read_b32 v81, v10 offset:21056                          // 00000000C02C: D86C5240 5100000A
	ds_read_b32 v82, v10 offset:21120                          // 00000000C034: D86C5280 5200000A
	ds_read_b32 v83, v10 offset:21184                          // 00000000C03C: D86C52C0 5300000A
	ds_read_b32 v84, v10 offset:21248                          // 00000000C044: D86C5300 5400000A
	ds_read_b32 v85, v10 offset:21312                          // 00000000C04C: D86C5340 5500000A
	ds_read_b32 v86, v10 offset:21376                          // 00000000C054: D86C5380 5600000A
	ds_read_b32 v87, v10 offset:21440                          // 00000000C05C: D86C53C0 5700000A
	ds_read_b32 v88, v10 offset:21504                          // 00000000C064: D86C5400 5800000A
	ds_read_b32 v89, v10 offset:21568                          // 00000000C06C: D86C5440 5900000A
	ds_read_b32 v90, v10 offset:21632                          // 00000000C074: D86C5480 5A00000A
	ds_read_b32 v91, v10 offset:21696                          // 00000000C07C: D86C54C0 5B00000A
	ds_read_b32 v92, v10 offset:21760                          // 00000000C084: D86C5500 5C00000A
	ds_read_b32 v93, v10 offset:21824                          // 00000000C08C: D86C5540 5D00000A
	ds_read_b32 v94, v10 offset:21888                          // 00000000C094: D86C5580 5E00000A
	ds_read_b32 v95, v10 offset:21952                          // 00000000C09C: D86C55C0 5F00000A
	v_mul_f32_e32 v48, v64, v48                                // 00000000C0A4: 0A606140
	v_mov_b32_e32 v18, v144                                    // 00000000C0A8: 7E240390
	v_add_f32_e32 v18, v145, v18                               // 00000000C0AC: 02242591
	v_add_f32_e32 v18, v146, v18                               // 00000000C0B0: 02242592
	v_add_f32_e32 v18, v147, v18                               // 00000000C0B4: 02242593
	v_add_f32_e32 v18, v148, v18                               // 00000000C0B8: 02242594
	v_add_f32_e32 v18, v149, v18                               // 00000000C0BC: 02242595
	v_add_f32_e32 v18, v150, v18                               // 00000000C0C0: 02242596
	v_add_f32_e32 v18, v151, v18                               // 00000000C0C4: 02242597
	v_add_f32_e32 v18, v152, v18                               // 00000000C0C8: 02242598
	v_add_f32_e32 v18, v153, v18                               // 00000000C0CC: 02242599
	v_add_f32_e32 v18, v154, v18                               // 00000000C0D0: 0224259A
	v_add_f32_e32 v18, v155, v18                               // 00000000C0D4: 0224259B
	v_add_f32_e32 v18, v156, v18                               // 00000000C0D8: 0224259C
	v_add_f32_e32 v18, v157, v18                               // 00000000C0DC: 0224259D
	v_add_f32_e32 v18, v158, v18                               // 00000000C0E0: 0224259E
	v_add_f32_e32 v18, v159, v18                               // 00000000C0E4: 0224259F
	v_add_f32_e32 v48, v18, v48                                // 00000000C0E8: 02606112
	s_waitcnt lgkmcnt(0)                                       // 00000000C0EC: BF8CC07F
	v_max3_f32 v62, |v80|, |v81|, v62                          // 00000000C0F0: D1D3033E 04FAA350
	v_max3_f32 v62, |v82|, |v83|, v62                          // 00000000C0F8: D1D3033E 04FAA752
	v_max3_f32 v62, |v84|, |v85|, v62                          // 00000000C100: D1D3033E 04FAAB54
	v_max3_f32 v62, |v86|, |v87|, v62                          // 00000000C108: D1D3033E 04FAAF56
	v_max3_f32 v62, |v88|, |v89|, v62                          // 00000000C110: D1D3033E 04FAB358
	v_max3_f32 v62, |v90|, |v91|, v62                          // 00000000C118: D1D3033E 04FAB75A
	v_max3_f32 v62, |v92|, |v93|, v62                          // 00000000C120: D1D3033E 04FABB5C
	v_max3_f32 v62, |v94|, |v95|, v62                          // 00000000C128: D1D3033E 04FABF5E
	s_nop 2                                                    // 00000000C130: BF800002
	v_rcp_f32_e32 v62, v62                                     // 00000000C134: 7E7C453E
	s_nop 1                                                    // 00000000C138: BF800001
	v_mul_f32_e32 v62, 0x43e00000, v62                         // 00000000C13C: 0A7C7CFF 43E00000
	v_mul_f32_e32 v144, v62, v240                              // 00000000C144: 0B21E13E
	v_mul_f32_e32 v145, v62, v241                              // 00000000C148: 0B23E33E
	v_mul_f32_e32 v146, v62, v242                              // 00000000C14C: 0B25E53E
	v_mul_f32_e32 v147, v62, v243                              // 00000000C150: 0B27E73E
	v_mul_f32_e32 v148, v62, v244                              // 00000000C154: 0B29E93E
	v_mul_f32_e32 v149, v62, v245                              // 00000000C158: 0B2BEB3E
	v_mul_f32_e32 v150, v62, v246                              // 00000000C15C: 0B2DED3E
	v_mul_f32_e32 v151, v62, v247                              // 00000000C160: 0B2FEF3E
	v_mul_f32_e32 v152, v62, v248                              // 00000000C164: 0B31F13E
	v_mul_f32_e32 v153, v62, v249                              // 00000000C168: 0B33F33E
	v_mul_f32_e32 v154, v62, v250                              // 00000000C16C: 0B35F53E
	v_mul_f32_e32 v155, v62, v251                              // 00000000C170: 0B37F73E
	v_mul_f32_e32 v156, v62, v252                              // 00000000C174: 0B39F93E
	v_mul_f32_e32 v157, v62, v253                              // 00000000C178: 0B3BFB3E
	v_mul_f32_e32 v158, v62, v254                              // 00000000C17C: 0B3DFD3E
	v_mul_f32_e32 v159, v62, v255                              // 00000000C180: 0B3FFF3E
	v_cvt_pk_fp8_f32 v144, v144, v145                          // 00000000C184: D2A20090 00032390
	v_cvt_pk_fp8_f32 v144, v146, v147 op_sel:[0,0,1]           // 00000000C18C: D2A24090 00032792
	v_cvt_pk_fp8_f32 v145, v148, v149                          // 00000000C194: D2A20091 00032B94
	v_cvt_pk_fp8_f32 v145, v150, v151 op_sel:[0,0,1]           // 00000000C19C: D2A24091 00032F96
	v_cvt_pk_fp8_f32 v146, v152, v153                          // 00000000C1A4: D2A20092 00033398
	v_cvt_pk_fp8_f32 v146, v154, v155 op_sel:[0,0,1]           // 00000000C1AC: D2A24092 0003379A
	v_cvt_pk_fp8_f32 v147, v156, v157                          // 00000000C1B4: D2A20093 00033B9C
	v_cvt_pk_fp8_f32 v147, v158, v159 op_sel:[0,0,1]           // 00000000C1BC: D2A24093 00033F9E
	ds_write_b32 v13, v144 offset:29184                        // 00000000C1C4: D81A7200 0000900D
	ds_write_b32 v13, v145 offset:30208                        // 00000000C1CC: D81A7600 0000910D
	ds_write_b32 v13, v146 offset:31232                        // 00000000C1D4: D81A7A00 0000920D
	ds_write_b32 v13, v147 offset:32256                        // 00000000C1DC: D81A7E00 0000930D
	v_add_f32_e32 v232, v232, v200                             // 00000000C1E4: 03D191E8
	v_add_f32_e32 v233, v233, v201                             // 00000000C1E8: 03D393E9
	v_add_f32_e32 v234, v234, v202                             // 00000000C1EC: 03D595EA
	v_add_f32_e32 v235, v235, v203                             // 00000000C1F0: 03D797EB
	v_add_f32_e32 v236, v236, v204                             // 00000000C1F4: 03D999EC
	v_add_f32_e32 v237, v237, v205                             // 00000000C1F8: 03DB9BED
	v_add_f32_e32 v238, v238, v206                             // 00000000C1FC: 03DD9DEE
	v_add_f32_e32 v239, v239, v207                             // 00000000C200: 03DF9FEF
	v_rcp_f32_e32 v59, v62                                     // 00000000C204: 7E76453E
	s_waitcnt lgkmcnt(0)                                       // 00000000C208: BF8CC07F
	s_barrier                                                  // 00000000C20C: BF8A0000
	ds_read_b64 v[144:145], v12 offset:29184                   // 00000000C210: D8EC7200 9000000C
	ds_read_b64 v[146:147], v12 offset:29312                   // 00000000C218: D8EC7280 9200000C
	ds_read_b64 v[148:149], v12 offset:30208                   // 00000000C220: D8EC7600 9400000C
	ds_read_b64 v[150:151], v12 offset:30336                   // 00000000C228: D8EC7680 9600000C
	ds_read_b64 v[152:153], v12 offset:31232                   // 00000000C230: D8EC7A00 9800000C
	ds_read_b64 v[154:155], v12 offset:31360                   // 00000000C238: D8EC7A80 9A00000C
	ds_read_b64 v[156:157], v12 offset:32256                   // 00000000C240: D8EC7E00 9C00000C
	ds_read_b64 v[158:159], v12 offset:32384                   // 00000000C248: D8EC7E80 9E00000C
	s_waitcnt vmcnt(15)                                        // 00000000C250: BF8C0F7F
	v_mfma_f32_16x16x32_fp8_fp8 v[192:195], a[64:65], v[128:129], 0// 00000000C254: D3F300C0 0A030140
	v_mfma_f32_16x16x32_fp8_fp8 v[192:195], a[66:67], v[130:131], v[192:195]// 00000000C25C: D3F300C0 0F030542
	buffer_load_dwordx4 a[112:115], v37, s[20:23], 0 offen offset:1024// 00000000C264: E05C1400 80857025
	v_mfma_f32_16x16x32_fp8_fp8 v[192:195], a[68:69], v[132:133], v[192:195]// 00000000C26C: D3F300C0 0F030944
	v_mfma_f32_16x16x32_fp8_fp8 v[192:195], a[70:71], v[134:135], v[192:195]// 00000000C274: D3F300C0 0F030D46
	v_mfma_f32_16x16x32_fp8_fp8 v[192:195], a[72:73], v[136:137], v[192:195]// 00000000C27C: D3F300C0 0F031148
	v_mfma_f32_16x16x32_fp8_fp8 v[192:195], a[74:75], v[138:139], v[192:195]// 00000000C284: D3F300C0 0F03154A
	buffer_load_dwordx4 a[116:119], v38, s[20:23], 0 offen offset:1024// 00000000C28C: E05C1400 80857426
	v_mfma_f32_16x16x32_fp8_fp8 v[192:195], a[76:77], v[140:141], v[192:195]// 00000000C294: D3F300C0 0F03194C
	v_mfma_f32_16x16x32_fp8_fp8 v[192:195], a[78:79], v[142:143], v[192:195]// 00000000C29C: D3F300C0 0F031D4E
	v_mfma_f32_16x16x32_fp8_fp8 v[196:199], a[80:81], v[128:129], 0// 00000000C2A4: D3F300C4 0A030150
	v_mfma_f32_16x16x32_fp8_fp8 v[196:199], a[82:83], v[130:131], v[196:199]// 00000000C2AC: D3F300C4 0F130552
	buffer_load_dwordx4 a[120:123], v39, s[20:23], 0 offen offset:1024// 00000000C2B4: E05C1400 80857827
	v_mfma_f32_16x16x32_fp8_fp8 v[196:199], a[84:85], v[132:133], v[196:199]// 00000000C2BC: D3F300C4 0F130954
	v_mfma_f32_16x16x32_fp8_fp8 v[196:199], a[86:87], v[134:135], v[196:199]// 00000000C2C4: D3F300C4 0F130D56
	v_mfma_f32_16x16x32_fp8_fp8 v[196:199], a[88:89], v[136:137], v[196:199]// 00000000C2CC: D3F300C4 0F131158
	v_mfma_f32_16x16x32_fp8_fp8 v[196:199], a[90:91], v[138:139], v[196:199]// 00000000C2D4: D3F300C4 0F13155A
	buffer_load_dwordx4 a[124:127], v40, s[20:23], 0 offen offset:1024// 00000000C2DC: E05C1400 80857C28
	v_mfma_f32_16x16x32_fp8_fp8 v[196:199], a[92:93], v[140:141], v[196:199]// 00000000C2E4: D3F300C4 0F13195C
	s_lshr_b32 s57, s70, 4                                     // 00000000C2EC: 8F398446
	s_add_u32 s57, 48, s57                                     // 00000000C2F0: 803939B0
	v_mfma_f32_16x16x32_fp8_fp8 v[196:199], a[94:95], v[142:143], v[196:199]// 00000000C2F4: D3F300C4 0F131D5E
	s_cmp_ge_u32 s57, s73                                      // 00000000C2FC: BF094939
	s_cselect_b32 s56, 0, s56                                  // 00000000C300: 85383880
	v_mfma_f32_16x16x32_fp8_fp8 v[200:203], a[64:65], v[144:145], 0// 00000000C304: D3F300C8 0A032140
	v_mfma_f32_16x16x32_fp8_fp8 v[200:203], a[66:67], v[146:147], v[200:203]// 00000000C30C: D3F300C8 0F232542
	v_mfma_f32_16x16x32_fp8_fp8 v[200:203], a[68:69], v[148:149], v[200:203]// 00000000C314: D3F300C8 0F232944
	v_mfma_f32_16x16x32_fp8_fp8 v[200:203], a[70:71], v[150:151], v[200:203]// 00000000C31C: D3F300C8 0F232D46
	v_mfma_f32_16x16x32_fp8_fp8 v[200:203], a[72:73], v[152:153], v[200:203]// 00000000C324: D3F300C8 0F233148
	v_mfma_f32_16x16x32_fp8_fp8 v[200:203], a[74:75], v[154:155], v[200:203]// 00000000C32C: D3F300C8 0F23354A
	v_mfma_f32_16x16x32_fp8_fp8 v[200:203], a[76:77], v[156:157], v[200:203]// 00000000C334: D3F300C8 0F23394C
	v_mfma_f32_16x16x32_fp8_fp8 v[200:203], a[78:79], v[158:159], v[200:203]// 00000000C33C: D3F300C8 0F233D4E
	v_mfma_f32_16x16x32_fp8_fp8 v[204:207], a[80:81], v[144:145], 0// 00000000C344: D3F300CC 0A032150
	v_mfma_f32_16x16x32_fp8_fp8 v[204:207], a[82:83], v[146:147], v[204:207]// 00000000C34C: D3F300CC 0F332552
	v_mfma_f32_16x16x32_fp8_fp8 v[204:207], a[84:85], v[148:149], v[204:207]// 00000000C354: D3F300CC 0F332954
	v_mfma_f32_16x16x32_fp8_fp8 v[204:207], a[86:87], v[150:151], v[204:207]// 00000000C35C: D3F300CC 0F332D56
	v_mfma_f32_16x16x32_fp8_fp8 v[204:207], a[88:89], v[152:153], v[204:207]// 00000000C364: D3F300CC 0F333158
	v_mfma_f32_16x16x32_fp8_fp8 v[204:207], a[90:91], v[154:155], v[204:207]// 00000000C36C: D3F300CC 0F33355A
	v_mfma_f32_16x16x32_fp8_fp8 v[204:207], a[92:93], v[156:157], v[204:207]// 00000000C374: D3F300CC 0F33395C
	v_mfma_f32_16x16x32_fp8_fp8 v[204:207], a[94:95], v[158:159], v[204:207]// 00000000C37C: D3F300CC 0F333D5E
	v_add_u32_e32 v1, s56, v1                                  // 00000000C384: 68020238
	s_addk_i32 s70, 0x100                                      // 00000000C388: B7460100
	s_cmp_lt_i32 s70, s71                                      // 00000000C38C: BF044746
	s_cbranch_scc0 label_2D8F                                  // 00000000C390: BF84052A
	s_waitcnt vmcnt(8) lgkmcnt(0)                              // 00000000C394: BF8C0078
	v_mul_u32_u24_dpp v41, v19, v68 row_newbcast:0 row_mask:0xf bank_mask:0xf// 00000000C398: 105288FA FF015013
	v_mul_u32_u24_dpp v42, v19, v68 row_newbcast:4 row_mask:0xf bank_mask:0xf// 00000000C3A0: 105488FA FF015413
	v_mul_u32_u24_dpp v43, v19, v68 row_newbcast:8 row_mask:0xf bank_mask:0xf// 00000000C3A8: 105688FA FF015813
	v_mul_u32_u24_dpp v44, v19, v68 row_newbcast:12 row_mask:0xf bank_mask:0xf// 00000000C3B0: 105888FA FF015C13
	v_add_u32_e32 v25, v41, v6                                 // 00000000C3B8: 68320D29
	v_add_u32_e32 v26, v42, v6                                 // 00000000C3BC: 68340D2A
	v_add_u32_e32 v27, v43, v6                                 // 00000000C3C0: 68360D2B
	v_add_u32_e32 v28, v44, v6                                 // 00000000C3C4: 68380D2C
	v_mul_u32_u24_dpp v41, v19, v78 quad_perm:[0,0,0,0] row_mask:0xf bank_mask:0xf// 00000000C3C8: 10529CFA FF000013
	v_add_u32_e32 v2, v41, v74                                 // 00000000C3D0: 68049529
	v_mul_u32_u24_dpp v41, v19, v78 quad_perm:[0,0,0,0] row_mask:0xf bank_mask:0xf// 00000000C3D4: 10529CFA FF000013
	v_add_u32_e32 v70, v41, v75                                // 00000000C3DC: 688C9729
	v_mfma_f32_16x16x32_fp8_fp8 v[128:131], a[32:33], v[96:97], 0// 00000000C3E0: D3F30080 0A02C120
	v_mfma_f32_16x16x32_fp8_fp8 v[128:131], a[34:35], v[98:99], v[128:131]// 00000000C3E8: D3F30080 0E02C522
	buffer_load_dwordx4 a[0:3], v25, s[16:19], 0 offen         // 00000000C3F0: E05C1000 80840019
	v_mfma_f32_16x16x32_fp8_fp8 v[128:131], a[36:37], v[100:101], v[128:131]// 00000000C3F8: D3F30080 0E02C924
	v_mfma_f32_16x16x32_fp8_fp8 v[128:131], a[38:39], v[102:103], v[128:131]// 00000000C400: D3F30080 0E02CD26
	buffer_load_dword v20, v1, s[24:27], 0 offen               // 00000000C408: E0501000 80061401
	v_mfma_f32_16x16x32_fp8_fp8 v[132:135], a[40:41], v[96:97], 0// 00000000C410: D3F30084 0A02C128
	v_mfma_f32_16x16x32_fp8_fp8 v[132:135], a[42:43], v[98:99], v[132:135]// 00000000C418: D3F30084 0E12C52A
	buffer_load_dwordx4 a[4:7], v25, s[16:19], 0 offen offset:1024// 00000000C420: E05C1400 80840419
	v_mfma_f32_16x16x32_fp8_fp8 v[132:135], a[44:45], v[100:101], v[132:135]// 00000000C428: D3F30084 0E12C92C
	v_mfma_f32_16x16x32_fp8_fp8 v[132:135], a[46:47], v[102:103], v[132:135]// 00000000C430: D3F30084 0E12CD2E
	v_mfma_f32_16x16x32_fp8_fp8 v[136:139], a[48:49], v[96:97], 0// 00000000C438: D3F30088 0A02C130
	v_mfma_f32_16x16x32_fp8_fp8 v[136:139], a[50:51], v[98:99], v[136:139]// 00000000C440: D3F30088 0E22C532
	buffer_load_dwordx4 a[8:11], v26, s[16:19], 0 offen        // 00000000C448: E05C1000 8084081A
	v_mfma_f32_16x16x32_fp8_fp8 v[136:139], a[52:53], v[100:101], v[136:139]// 00000000C450: D3F30088 0E22C934
	v_mfma_f32_16x16x32_fp8_fp8 v[136:139], a[54:55], v[102:103], v[136:139]// 00000000C458: D3F30088 0E22CD36
	v_mfma_f32_16x16x32_fp8_fp8 v[140:143], a[56:57], v[96:97], 0// 00000000C460: D3F3008C 0A02C138
	v_mfma_f32_16x16x32_fp8_fp8 v[140:143], a[58:59], v[98:99], v[140:143]// 00000000C468: D3F3008C 0E32C53A
	buffer_load_dwordx4 a[12:15], v26, s[16:19], 0 offen offset:1024// 00000000C470: E05C1400 80840C1A
	v_mfma_f32_16x16x32_fp8_fp8 v[140:143], a[60:61], v[100:101], v[140:143]// 00000000C478: D3F3008C 0E32C93C
	v_mfma_f32_16x16x32_fp8_fp8 v[140:143], a[62:63], v[102:103], v[140:143]// 00000000C480: D3F3008C 0E32CD3E
	v_mfma_f32_16x16x32_fp8_fp8 v[144:147], a[32:33], v[104:105], 0// 00000000C488: D3F30090 0A02D120
	v_mfma_f32_16x16x32_fp8_fp8 v[144:147], a[34:35], v[106:107], v[144:147]// 00000000C490: D3F30090 0E42D522
	v_mfma_f32_16x16x32_fp8_fp8 v[144:147], a[36:37], v[108:109], v[144:147]// 00000000C498: D3F30090 0E42D924
	v_mfma_f32_16x16x32_fp8_fp8 v[144:147], a[38:39], v[110:111], v[144:147]// 00000000C4A0: D3F30090 0E42DD26
	v_mfma_f32_16x16x32_fp8_fp8 v[148:151], a[40:41], v[104:105], 0// 00000000C4A8: D3F30094 0A02D128
	v_mfma_f32_16x16x32_fp8_fp8 v[148:151], a[42:43], v[106:107], v[148:151]// 00000000C4B0: D3F30094 0E52D52A
	v_mfma_f32_16x16x32_fp8_fp8 v[148:151], a[44:45], v[108:109], v[148:151]// 00000000C4B8: D3F30094 0E52D92C
	v_mfma_f32_16x16x32_fp8_fp8 v[148:151], a[46:47], v[110:111], v[148:151]// 00000000C4C0: D3F30094 0E52DD2E
	v_mfma_f32_16x16x32_fp8_fp8 v[152:155], a[48:49], v[104:105], 0// 00000000C4C8: D3F30098 0A02D130
	v_mfma_f32_16x16x32_fp8_fp8 v[152:155], a[50:51], v[106:107], v[152:155]// 00000000C4D0: D3F30098 0E62D532
	v_mfma_f32_16x16x32_fp8_fp8 v[152:155], a[52:53], v[108:109], v[152:155]// 00000000C4D8: D3F30098 0E62D934
	v_mfma_f32_16x16x32_fp8_fp8 v[152:155], a[54:55], v[110:111], v[152:155]// 00000000C4E0: D3F30098 0E62DD36
	v_mfma_f32_16x16x32_fp8_fp8 v[156:159], a[56:57], v[104:105], 0// 00000000C4E8: D3F3009C 0A02D138
	v_mfma_f32_16x16x32_fp8_fp8 v[156:159], a[58:59], v[106:107], v[156:159]// 00000000C4F0: D3F3009C 0E72D53A
	v_mfma_f32_16x16x32_fp8_fp8 v[156:159], a[60:61], v[108:109], v[156:159]// 00000000C4F8: D3F3009C 0E72D93C
	v_mfma_f32_16x16x32_fp8_fp8 v[156:159], a[62:63], v[110:111], v[156:159]// 00000000C500: D3F3009C 0E72DD3E
	buffer_load_dword v52, v2, s[32:35], 0 offen               // 00000000C508: E0501000 80083402
	v_mov_b32_dpp v41, v53 row_shr:4 row_mask:0xf bank_mask:0xf// 00000000C510: 7E5202FA FF011435
	v_mov_b32_dpp v42, v53 row_shl:4 row_mask:0xf bank_mask:0xf// 00000000C518: 7E5402FA FF010435
	v_cndmask_b32_e64 v248, v53, v41, s[44:45]                 // 00000000C520: D10000F8 00B25335
	v_cndmask_b32_e64 v249, v42, v53, s[44:45]                 // 00000000C528: D10000F9 00B26B2A
	v_mov_b32_dpp v41, v248 row_shr:8 row_mask:0xf bank_mask:0xf// 00000000C530: 7E5202FA FF0118F8
	v_mov_b32_dpp v42, v248 row_shl:8 row_mask:0xf bank_mask:0xf// 00000000C538: 7E5402FA FF0108F8
	v_mov_b32_dpp v43, v249 row_shr:8 row_mask:0xf bank_mask:0xf// 00000000C540: 7E5602FA FF0118F9
	v_mov_b32_dpp v44, v249 row_shl:8 row_mask:0xf bank_mask:0xf// 00000000C548: 7E5802FA FF0108F9
	v_mov_b32_e32 v45, v248                                    // 00000000C550: 7E5A03F8
	v_mov_b32_e32 v46, v249                                    // 00000000C554: 7E5C03F9
	v_cndmask_b32_e64 v248, v45, v41, s[42:43]                 // 00000000C558: D10000F8 00AA532D
	v_cndmask_b32_e64 v250, v45, v42, s[78:79]                 // 00000000C560: D10000FA 013A552D
	v_cndmask_b32_e64 v249, v46, v43, s[42:43]                 // 00000000C568: D10000F9 00AA572E
	v_cndmask_b32_e64 v251, v46, v44, s[78:79]                 // 00000000C570: D10000FB 013A592E
	v_mov_b32_dpp v41, v73 row_shr:4 row_mask:0xf bank_mask:0xf// 00000000C578: 7E5202FA FF011449
	v_mov_b32_dpp v42, v73 row_shl:4 row_mask:0xf bank_mask:0xf// 00000000C580: 7E5402FA FF010449
	v_cndmask_b32_e64 v252, v73, v41, s[44:45]                 // 00000000C588: D10000FC 00B25349
	v_cndmask_b32_e64 v253, v42, v73, s[44:45]                 // 00000000C590: D10000FD 00B2932A
	v_mov_b32_dpp v41, v252 row_shr:8 row_mask:0xf bank_mask:0xf// 00000000C598: 7E5202FA FF0118FC
	v_mov_b32_dpp v42, v252 row_shl:8 row_mask:0xf bank_mask:0xf// 00000000C5A0: 7E5402FA FF0108FC
	v_mov_b32_dpp v43, v253 row_shr:8 row_mask:0xf bank_mask:0xf// 00000000C5A8: 7E5602FA FF0118FD
	v_mov_b32_dpp v44, v253 row_shl:8 row_mask:0xf bank_mask:0xf// 00000000C5B0: 7E5802FA FF0108FD
	v_mov_b32_e32 v45, v252                                    // 00000000C5B8: 7E5A03FC
	v_mov_b32_e32 v46, v253                                    // 00000000C5BC: 7E5C03FD
	v_cndmask_b32_e64 v252, v45, v41, s[42:43]                 // 00000000C5C0: D10000FC 00AA532D
	v_cndmask_b32_e64 v254, v45, v42, s[78:79]                 // 00000000C5C8: D10000FE 013A552D
	v_cndmask_b32_e64 v253, v46, v43, s[42:43]                 // 00000000C5D0: D10000FD 00AA572E
	v_cndmask_b32_e64 v255, v46, v44, s[78:79]                 // 00000000C5D8: D10000FF 013A592E
	buffer_load_dword v72, v70, s[36:39], 0 offen              // 00000000C5E0: E0501000 80094846
	v_mul_f32_e32 v128, v54, v128                              // 00000000C5E8: 0B010136
	v_mul_f32_e32 v129, v54, v129                              // 00000000C5EC: 0B030336
	v_mul_f32_e32 v130, v54, v130                              // 00000000C5F0: 0B050536
	v_mul_f32_e32 v131, v54, v131                              // 00000000C5F4: 0B070736
	v_mul_f32_e32 v132, v54, v132                              // 00000000C5F8: 0B090936
	v_mul_f32_e32 v133, v54, v133                              // 00000000C5FC: 0B0B0B36
	v_mul_f32_e32 v134, v54, v134                              // 00000000C600: 0B0D0D36
	v_mul_f32_e32 v135, v54, v135                              // 00000000C604: 0B0F0F36
	v_mul_f32_e32 v136, v54, v136                              // 00000000C608: 0B111136
	v_mul_f32_e32 v137, v54, v137                              // 00000000C60C: 0B131336
	v_mul_f32_e32 v138, v54, v138                              // 00000000C610: 0B151536
	v_mul_f32_e32 v139, v54, v139                              // 00000000C614: 0B171736
	v_mul_f32_e32 v140, v54, v140                              // 00000000C618: 0B191936
	v_mul_f32_e32 v141, v54, v141                              // 00000000C61C: 0B1B1B36
	v_mul_f32_e32 v142, v54, v142                              // 00000000C620: 0B1D1D36
	v_mul_f32_e32 v143, v54, v143                              // 00000000C624: 0B1F1F36
	buffer_load_dwordx4 a[16:19], v27, s[16:19], 0 offen       // 00000000C628: E05C1000 8084101B
	v_mul_f32_dpp v128, v248, v128 quad_perm:[0,0,0,0] row_mask:0xf bank_mask:0xf// 00000000C630: 0B0100FA FF0000F8
	v_mul_f32_dpp v129, v248, v129 quad_perm:[1,1,1,1] row_mask:0xf bank_mask:0xf// 00000000C638: 0B0302FA FF0055F8
	v_mul_f32_dpp v130, v248, v130 quad_perm:[2,2,2,2] row_mask:0xf bank_mask:0xf// 00000000C640: 0B0504FA FF00AAF8
	v_mul_f32_dpp v131, v248, v131 quad_perm:[3,3,3,3] row_mask:0xf bank_mask:0xf// 00000000C648: 0B0706FA FF00FFF8
	v_mul_f32_dpp v132, v249, v132 quad_perm:[0,0,0,0] row_mask:0xf bank_mask:0xf// 00000000C650: 0B0908FA FF0000F9
	v_mul_f32_dpp v133, v249, v133 quad_perm:[1,1,1,1] row_mask:0xf bank_mask:0xf// 00000000C658: 0B0B0AFA FF0055F9
	v_mul_f32_dpp v134, v249, v134 quad_perm:[2,2,2,2] row_mask:0xf bank_mask:0xf// 00000000C660: 0B0D0CFA FF00AAF9
	v_mul_f32_dpp v135, v249, v135 quad_perm:[3,3,3,3] row_mask:0xf bank_mask:0xf// 00000000C668: 0B0F0EFA FF00FFF9
	v_mul_f32_dpp v136, v250, v136 quad_perm:[0,0,0,0] row_mask:0xf bank_mask:0xf// 00000000C670: 0B1110FA FF0000FA
	v_mul_f32_dpp v137, v250, v137 quad_perm:[1,1,1,1] row_mask:0xf bank_mask:0xf// 00000000C678: 0B1312FA FF0055FA
	v_mul_f32_dpp v138, v250, v138 quad_perm:[2,2,2,2] row_mask:0xf bank_mask:0xf// 00000000C680: 0B1514FA FF00AAFA
	v_mul_f32_dpp v139, v250, v139 quad_perm:[3,3,3,3] row_mask:0xf bank_mask:0xf// 00000000C688: 0B1716FA FF00FFFA
	v_mul_f32_dpp v140, v251, v140 quad_perm:[0,0,0,0] row_mask:0xf bank_mask:0xf// 00000000C690: 0B1918FA FF0000FB
	v_mul_f32_dpp v141, v251, v141 quad_perm:[1,1,1,1] row_mask:0xf bank_mask:0xf// 00000000C698: 0B1B1AFA FF0055FB
	v_mul_f32_dpp v142, v251, v142 quad_perm:[2,2,2,2] row_mask:0xf bank_mask:0xf// 00000000C6A0: 0B1D1CFA FF00AAFB
	v_mul_f32_dpp v143, v251, v143 quad_perm:[3,3,3,3] row_mask:0xf bank_mask:0xf// 00000000C6A8: 0B1F1EFA FF00FFFB
	buffer_load_dwordx4 a[20:23], v27, s[16:19], 0 offen offset:1024// 00000000C6B0: E05C1400 8084141B
	s_cmp_le_i32 s90, s89                                      // 00000000C6B8: BF05595A
	s_cbranch_scc1 label_29A3                                  // 00000000C6BC: BF850073
	v_mov_b32_e32 v69, 0xff800000                              // 00000000C6C0: 7E8A02FF FF800000
	s_mov_b32 s60, s90                                         // 00000000C6C8: BEBC005A
	s_add_u32 s61, s89, 0xff                                   // 00000000C6CC: 803DFF59 000000FF
	v_mov_b32_e32 v41, s61                                     // 00000000C6D4: 7E52023D
	v_lshrrev_b32_e32 v240, 4, v0                              // 00000000C6D8: 21E00084
	v_mul_i32_i24_e32 v240, 4, v240                            // 00000000C6DC: 0DE1E084
	v_add_u32_e32 v240, s60, v240                              // 00000000C6E0: 69E1E03C
	v_and_b32_e32 v42, 15, v0                                  // 00000000C6E4: 2654008F
	v_lshrrev_b32_e32 v42, 3, v42                              // 00000000C6E8: 20545483
	s_mov_b32 s61, 0                                           // 00000000C6EC: BEBD0080
	s_mul_i32 s60, 16, s7                                      // 00000000C6F0: 923C0790
	v_add_u32_e32 v42, s61, v42                                // 00000000C6F4: 6854543D
	v_sub_u32_e32 v240, v240, v42                              // 00000000C6F8: 6BE055F0
	v_add_u32_e32 v240, s60, v240                              // 00000000C6FC: 69E1E03C
	v_add_u32_e32 v241, 1, v240                                // 00000000C700: 69E3E081
	v_add_u32_e32 v242, 2, v240                                // 00000000C704: 69E5E082
	v_add_u32_e32 v243, 3, v240                                // 00000000C708: 69E7E083
	v_cmp_le_u32_e64 s[40:41], v240, v41                       // 00000000C70C: D0CB0028 000253F0
	v_add_u32_e32 v240, 64, v240                               // 00000000C714: 69E1E0C0
	s_nop 0                                                    // 00000000C718: BF800000
	v_cndmask_b32_e64 v128, v69, v128, s[40:41]                // 00000000C71C: D1000080 00A30145
	v_cmp_le_u32_e64 s[40:41], v241, v41                       // 00000000C724: D0CB0028 000253F1
	v_add_u32_e32 v241, 64, v241                               // 00000000C72C: 69E3E2C0
	s_nop 0                                                    // 00000000C730: BF800000
	v_cndmask_b32_e64 v129, v69, v129, s[40:41]                // 00000000C734: D1000081 00A30345
	v_cmp_le_u32_e64 s[40:41], v242, v41                       // 00000000C73C: D0CB0028 000253F2
	v_add_u32_e32 v242, 64, v242                               // 00000000C744: 69E5E4C0
	s_nop 0                                                    // 00000000C748: BF800000
	v_cndmask_b32_e64 v130, v69, v130, s[40:41]                // 00000000C74C: D1000082 00A30545
	v_cmp_le_u32_e64 s[40:41], v243, v41                       // 00000000C754: D0CB0028 000253F3
	v_add_u32_e32 v243, 64, v243                               // 00000000C75C: 69E7E6C0
	s_nop 0                                                    // 00000000C760: BF800000
	v_cndmask_b32_e64 v131, v69, v131, s[40:41]                // 00000000C764: D1000083 00A30745
	v_cmp_le_u32_e64 s[40:41], v240, v41                       // 00000000C76C: D0CB0028 000253F0
	v_add_u32_e32 v240, 64, v240                               // 00000000C774: 69E1E0C0
	s_nop 0                                                    // 00000000C778: BF800000
	v_cndmask_b32_e64 v132, v69, v132, s[40:41]                // 00000000C77C: D1000084 00A30945
	v_cmp_le_u32_e64 s[40:41], v241, v41                       // 00000000C784: D0CB0028 000253F1
	v_add_u32_e32 v241, 64, v241                               // 00000000C78C: 69E3E2C0
	s_nop 0                                                    // 00000000C790: BF800000
	v_cndmask_b32_e64 v133, v69, v133, s[40:41]                // 00000000C794: D1000085 00A30B45
	v_cmp_le_u32_e64 s[40:41], v242, v41                       // 00000000C79C: D0CB0028 000253F2
	v_add_u32_e32 v242, 64, v242                               // 00000000C7A4: 69E5E4C0
	s_nop 0                                                    // 00000000C7A8: BF800000
	v_cndmask_b32_e64 v134, v69, v134, s[40:41]                // 00000000C7AC: D1000086 00A30D45
	v_cmp_le_u32_e64 s[40:41], v243, v41                       // 00000000C7B4: D0CB0028 000253F3
	v_add_u32_e32 v243, 64, v243                               // 00000000C7BC: 69E7E6C0
	s_nop 0                                                    // 00000000C7C0: BF800000
	v_cndmask_b32_e64 v135, v69, v135, s[40:41]                // 00000000C7C4: D1000087 00A30F45
	v_cmp_le_u32_e64 s[40:41], v240, v41                       // 00000000C7CC: D0CB0028 000253F0
	v_add_u32_e32 v240, 64, v240                               // 00000000C7D4: 69E1E0C0
	s_nop 0                                                    // 00000000C7D8: BF800000
	v_cndmask_b32_e64 v136, v69, v136, s[40:41]                // 00000000C7DC: D1000088 00A31145
	v_cmp_le_u32_e64 s[40:41], v241, v41                       // 00000000C7E4: D0CB0028 000253F1
	v_add_u32_e32 v241, 64, v241                               // 00000000C7EC: 69E3E2C0
	s_nop 0                                                    // 00000000C7F0: BF800000
	v_cndmask_b32_e64 v137, v69, v137, s[40:41]                // 00000000C7F4: D1000089 00A31345
	v_cmp_le_u32_e64 s[40:41], v242, v41                       // 00000000C7FC: D0CB0028 000253F2
	v_add_u32_e32 v242, 64, v242                               // 00000000C804: 69E5E4C0
	s_nop 0                                                    // 00000000C808: BF800000
	v_cndmask_b32_e64 v138, v69, v138, s[40:41]                // 00000000C80C: D100008A 00A31545
	v_cmp_le_u32_e64 s[40:41], v243, v41                       // 00000000C814: D0CB0028 000253F3
	v_add_u32_e32 v243, 64, v243                               // 00000000C81C: 69E7E6C0
	s_nop 0                                                    // 00000000C820: BF800000
	v_cndmask_b32_e64 v139, v69, v139, s[40:41]                // 00000000C824: D100008B 00A31745
	v_cmp_le_u32_e64 s[40:41], v240, v41                       // 00000000C82C: D0CB0028 000253F0
	v_add_u32_e32 v240, 64, v240                               // 00000000C834: 69E1E0C0
	s_nop 0                                                    // 00000000C838: BF800000
	v_cndmask_b32_e64 v140, v69, v140, s[40:41]                // 00000000C83C: D100008C 00A31945
	v_cmp_le_u32_e64 s[40:41], v241, v41                       // 00000000C844: D0CB0028 000253F1
	v_add_u32_e32 v241, 64, v241                               // 00000000C84C: 69E3E2C0
	s_nop 0                                                    // 00000000C850: BF800000
	v_cndmask_b32_e64 v141, v69, v141, s[40:41]                // 00000000C854: D100008D 00A31B45
	v_cmp_le_u32_e64 s[40:41], v242, v41                       // 00000000C85C: D0CB0028 000253F2
	v_add_u32_e32 v242, 64, v242                               // 00000000C864: 69E5E4C0
	s_nop 0                                                    // 00000000C868: BF800000
	v_cndmask_b32_e64 v142, v69, v142, s[40:41]                // 00000000C86C: D100008E 00A31D45
	v_cmp_le_u32_e64 s[40:41], v243, v41                       // 00000000C874: D0CB0028 000253F3
	v_add_u32_e32 v243, 64, v243                               // 00000000C87C: 69E7E6C0
	s_nop 0                                                    // 00000000C880: BF800000
	v_cndmask_b32_e64 v143, v69, v143, s[40:41]                // 00000000C884: D100008F 00A31F45

000000000000c88c <label_29A3>:
	v_mov_b32_e32 v62, v128                                    // 00000000C88C: 7E7C0380
	v_max3_f32 v62, v128, v129, v62                            // 00000000C890: D1D3003E 04FB0380
	v_max3_f32 v62, v130, v131, v62                            // 00000000C898: D1D3003E 04FB0782
	v_max3_f32 v62, v132, v133, v62                            // 00000000C8A0: D1D3003E 04FB0B84
	v_max3_f32 v62, v134, v135, v62                            // 00000000C8A8: D1D3003E 04FB0F86
	v_max3_f32 v62, v136, v137, v62                            // 00000000C8B0: D1D3003E 04FB1388
	v_max3_f32 v62, v138, v139, v62                            // 00000000C8B8: D1D3003E 04FB178A
	v_max3_f32 v62, v140, v141, v62                            // 00000000C8C0: D1D3003E 04FB1B8C
	v_max3_f32 v62, v142, v143, v62                            // 00000000C8C8: D1D3003E 04FB1F8E
	ds_write_b32 v11, v62 offset:16896                         // 00000000C8D0: D81A4200 00003E0B
	buffer_load_dwordx4 a[24:27], v28, s[16:19], 0 offen       // 00000000C8D8: E05C1000 8084181C
	v_mul_u32_u24_dpp v41, v19, v68 row_newbcast:1 row_mask:0xf bank_mask:0xf// 00000000C8E0: 105288FA FF015113
	v_mul_u32_u24_dpp v42, v19, v68 row_newbcast:5 row_mask:0xf bank_mask:0xf// 00000000C8E8: 105488FA FF015513
	v_mul_u32_u24_dpp v43, v19, v68 row_newbcast:9 row_mask:0xf bank_mask:0xf// 00000000C8F0: 105688FA FF015913
	v_mul_u32_u24_dpp v44, v19, v68 row_newbcast:13 row_mask:0xf bank_mask:0xf// 00000000C8F8: 105888FA FF015D13
	v_add_u32_e32 v33, v41, v7                                 // 00000000C900: 68420F29
	v_add_u32_e32 v34, v42, v7                                 // 00000000C904: 68440F2A
	v_add_u32_e32 v35, v43, v7                                 // 00000000C908: 68460F2B
	v_add_u32_e32 v36, v44, v7                                 // 00000000C90C: 68480F2C
	v_mul_f32_e32 v224, v63, v224                              // 00000000C910: 0BC1C13F
	v_mul_f32_e32 v225, v63, v225                              // 00000000C914: 0BC3C33F
	v_mul_f32_e32 v226, v63, v226                              // 00000000C918: 0BC5C53F
	v_mul_f32_e32 v227, v63, v227                              // 00000000C91C: 0BC7C73F
	v_mul_f32_e32 v228, v63, v228                              // 00000000C920: 0BC9C93F
	v_mul_f32_e32 v229, v63, v229                              // 00000000C924: 0BCBCB3F
	v_mul_f32_e32 v230, v63, v230                              // 00000000C928: 0BCDCD3F
	v_mul_f32_e32 v231, v63, v231                              // 00000000C92C: 0BCFCF3F
	s_waitcnt lgkmcnt(0)                                       // 00000000C930: BF8CC07F
	s_barrier                                                  // 00000000C934: BF8A0000
	ds_read_b32 v80, v10 offset:16896                          // 00000000C938: D86C4200 5000000A
	ds_read_b32 v81, v10 offset:16960                          // 00000000C940: D86C4240 5100000A
	ds_read_b32 v82, v10 offset:17024                          // 00000000C948: D86C4280 5200000A
	ds_read_b32 v83, v10 offset:17088                          // 00000000C950: D86C42C0 5300000A
	ds_read_b32 v84, v10 offset:17152                          // 00000000C958: D86C4300 5400000A
	ds_read_b32 v85, v10 offset:17216                          // 00000000C960: D86C4340 5500000A
	ds_read_b32 v86, v10 offset:17280                          // 00000000C968: D86C4380 5600000A
	ds_read_b32 v87, v10 offset:17344                          // 00000000C970: D86C43C0 5700000A
	ds_read_b32 v88, v10 offset:17408                          // 00000000C978: D86C4400 5800000A
	ds_read_b32 v89, v10 offset:17472                          // 00000000C980: D86C4440 5900000A
	ds_read_b32 v90, v10 offset:17536                          // 00000000C988: D86C4480 5A00000A
	ds_read_b32 v91, v10 offset:17600                          // 00000000C990: D86C44C0 5B00000A
	ds_read_b32 v92, v10 offset:17664                          // 00000000C998: D86C4500 5C00000A
	ds_read_b32 v93, v10 offset:17728                          // 00000000C9A0: D86C4540 5D00000A
	ds_read_b32 v94, v10 offset:17792                          // 00000000C9A8: D86C4580 5E00000A
	ds_read_b32 v95, v10 offset:17856                          // 00000000C9B0: D86C45C0 5F00000A
	buffer_load_dwordx4 a[28:31], v28, s[16:19], 0 offen offset:1024// 00000000C9B8: E05C1400 80841C1C
	v_mul_f32_e32 v192, v58, v192                              // 00000000C9C0: 0B81813A
	v_mul_f32_e32 v193, v58, v193                              // 00000000C9C4: 0B83833A
	v_mul_f32_e32 v194, v58, v194                              // 00000000C9C8: 0B85853A
	v_mul_f32_e32 v195, v58, v195                              // 00000000C9CC: 0B87873A
	v_mul_f32_e32 v196, v58, v196                              // 00000000C9D0: 0B89893A
	v_mul_f32_e32 v197, v58, v197                              // 00000000C9D4: 0B8B8B3A
	v_mul_f32_e32 v198, v58, v198                              // 00000000C9D8: 0B8D8D3A
	v_mul_f32_e32 v199, v58, v199                              // 00000000C9DC: 0B8F8F3A
	s_waitcnt lgkmcnt(0)                                       // 00000000C9E0: BF8CC07F
	v_max3_f32 v62, v80, v81, v62                              // 00000000C9E4: D1D3003E 04FAA350
	v_max3_f32 v62, v82, v83, v62                              // 00000000C9EC: D1D3003E 04FAA752
	v_max3_f32 v62, v84, v85, v62                              // 00000000C9F4: D1D3003E 04FAAB54
	v_max3_f32 v62, v86, v87, v62                              // 00000000C9FC: D1D3003E 04FAAF56
	v_max3_f32 v62, v88, v89, v62                              // 00000000CA04: D1D3003E 04FAB358
	v_max3_f32 v62, v90, v91, v62                              // 00000000CA0C: D1D3003E 04FAB75A
	v_max3_f32 v62, v92, v93, v62                              // 00000000CA14: D1D3003E 04FABB5C
	v_max3_f32 v62, v94, v95, v62                              // 00000000CA1C: D1D3003E 04FABF5E
	buffer_load_dwordx4 a[64:67], v33, s[20:23], 0 offen       // 00000000CA24: E05C1000 80854021
	v_mov_b32_e32 v41, 0xff800000                              // 00000000CA2C: 7E5202FF FF800000
	v_cmp_eq_u32_e64 s[40:41], v41, v14                        // 00000000CA34: D0CA0028 00021D29
	s_nop 1                                                    // 00000000CA3C: BF800001
	v_max_f32_e32 v18, v62, v14                                // 00000000CA40: 16241D3E
	v_mul_f32_e32 v67, s64, v18                                // 00000000CA44: 0A862440
	v_fma_f32 v128, v128, s64, -v67                            // 00000000CA48: D1CB0080 850C8180
	v_fma_f32 v129, v129, s64, -v67                            // 00000000CA50: D1CB0081 850C8181
	v_fma_f32 v130, v130, s64, -v67                            // 00000000CA58: D1CB0082 850C8182
	v_fma_f32 v131, v131, s64, -v67                            // 00000000CA60: D1CB0083 850C8183
	v_fma_f32 v132, v132, s64, -v67                            // 00000000CA68: D1CB0084 850C8184
	v_fma_f32 v133, v133, s64, -v67                            // 00000000CA70: D1CB0085 850C8185
	v_fma_f32 v134, v134, s64, -v67                            // 00000000CA78: D1CB0086 850C8186
	v_fma_f32 v135, v135, s64, -v67                            // 00000000CA80: D1CB0087 850C8187
	v_fma_f32 v136, v136, s64, -v67                            // 00000000CA88: D1CB0088 850C8188
	v_fma_f32 v137, v137, s64, -v67                            // 00000000CA90: D1CB0089 850C8189
	v_fma_f32 v138, v138, s64, -v67                            // 00000000CA98: D1CB008A 850C818A
	v_fma_f32 v139, v139, s64, -v67                            // 00000000CAA0: D1CB008B 850C818B
	v_fma_f32 v140, v140, s64, -v67                            // 00000000CAA8: D1CB008C 850C818C
	v_fma_f32 v141, v141, s64, -v67                            // 00000000CAB0: D1CB008D 850C818D
	v_fma_f32 v142, v142, s64, -v67                            // 00000000CAB8: D1CB008E 850C818E
	v_fma_f32 v143, v143, s64, -v67                            // 00000000CAC0: D1CB008F 850C818F
	buffer_load_dwordx4 a[68:71], v34, s[20:23], 0 offen       // 00000000CAC8: E05C1000 80854422
	v_exp_f32_e32 v128, v128                                   // 00000000CAD0: 7F004180
	v_exp_f32_e32 v129, v129                                   // 00000000CAD4: 7F024181
	v_exp_f32_e32 v130, v130                                   // 00000000CAD8: 7F044182
	v_exp_f32_e32 v131, v131                                   // 00000000CADC: 7F064183
	v_exp_f32_e32 v132, v132                                   // 00000000CAE0: 7F084184
	v_exp_f32_e32 v133, v133                                   // 00000000CAE4: 7F0A4185
	v_exp_f32_e32 v134, v134                                   // 00000000CAE8: 7F0C4186
	v_exp_f32_e32 v135, v135                                   // 00000000CAEC: 7F0E4187
	v_exp_f32_e32 v136, v136                                   // 00000000CAF0: 7F104188
	v_exp_f32_e32 v137, v137                                   // 00000000CAF4: 7F124189
	v_exp_f32_e32 v138, v138                                   // 00000000CAF8: 7F14418A
	v_exp_f32_e32 v139, v139                                   // 00000000CAFC: 7F16418B
	v_exp_f32_e32 v140, v140                                   // 00000000CB00: 7F18418C
	v_exp_f32_e32 v141, v141                                   // 00000000CB04: 7F1A418D
	v_exp_f32_e32 v142, v142                                   // 00000000CB08: 7F1C418E
	v_exp_f32_e32 v143, v143                                   // 00000000CB0C: 7F1E418F
	buffer_load_dwordx4 a[72:75], v35, s[20:23], 0 offen       // 00000000CB10: E05C1000 80854823
	v_mul_f32_dpp v240, v252, v128 quad_perm:[0,0,0,0] row_mask:0xf bank_mask:0xf// 00000000CB18: 0BE100FA FF0000FC
	v_mul_f32_dpp v241, v252, v129 quad_perm:[1,1,1,1] row_mask:0xf bank_mask:0xf// 00000000CB20: 0BE302FA FF0055FC
	v_mul_f32_dpp v242, v252, v130 quad_perm:[2,2,2,2] row_mask:0xf bank_mask:0xf// 00000000CB28: 0BE504FA FF00AAFC
	v_mul_f32_dpp v243, v252, v131 quad_perm:[3,3,3,3] row_mask:0xf bank_mask:0xf// 00000000CB30: 0BE706FA FF00FFFC
	v_mul_f32_dpp v244, v253, v132 quad_perm:[0,0,0,0] row_mask:0xf bank_mask:0xf// 00000000CB38: 0BE908FA FF0000FD
	v_mul_f32_dpp v245, v253, v133 quad_perm:[1,1,1,1] row_mask:0xf bank_mask:0xf// 00000000CB40: 0BEB0AFA FF0055FD
	v_mul_f32_dpp v246, v253, v134 quad_perm:[2,2,2,2] row_mask:0xf bank_mask:0xf// 00000000CB48: 0BED0CFA FF00AAFD
	v_mul_f32_dpp v247, v253, v135 quad_perm:[3,3,3,3] row_mask:0xf bank_mask:0xf// 00000000CB50: 0BEF0EFA FF00FFFD
	v_mul_f32_dpp v248, v254, v136 quad_perm:[0,0,0,0] row_mask:0xf bank_mask:0xf// 00000000CB58: 0BF110FA FF0000FE
	v_mul_f32_dpp v249, v254, v137 quad_perm:[1,1,1,1] row_mask:0xf bank_mask:0xf// 00000000CB60: 0BF312FA FF0055FE
	v_mul_f32_dpp v250, v254, v138 quad_perm:[2,2,2,2] row_mask:0xf bank_mask:0xf// 00000000CB68: 0BF514FA FF00AAFE
	v_mul_f32_dpp v251, v254, v139 quad_perm:[3,3,3,3] row_mask:0xf bank_mask:0xf// 00000000CB70: 0BF716FA FF00FFFE
	v_mul_f32_dpp v252, v255, v140 quad_perm:[0,0,0,0] row_mask:0xf bank_mask:0xf// 00000000CB78: 0BF918FA FF0000FF
	v_mul_f32_dpp v253, v255, v141 quad_perm:[1,1,1,1] row_mask:0xf bank_mask:0xf// 00000000CB80: 0BFB1AFA FF0055FF
	v_mul_f32_dpp v254, v255, v142 quad_perm:[2,2,2,2] row_mask:0xf bank_mask:0xf// 00000000CB88: 0BFD1CFA FF00AAFF
	v_mul_f32_dpp v255, v255, v143 quad_perm:[3,3,3,3] row_mask:0xf bank_mask:0xf// 00000000CB90: 0BFF1EFA FF00FFFF
	v_mov_b32_e32 v62, 0x358637bd                              // 00000000CB98: 7E7C02FF 358637BD
	v_max3_f32 v62, |v240|, |v241|, v62                        // 00000000CBA0: D1D3033E 04FBE3F0
	v_max3_f32 v62, |v242|, |v243|, v62                        // 00000000CBA8: D1D3033E 04FBE7F2
	v_max3_f32 v62, |v244|, |v245|, v62                        // 00000000CBB0: D1D3033E 04FBEBF4
	v_max3_f32 v62, |v246|, |v247|, v62                        // 00000000CBB8: D1D3033E 04FBEFF6
	v_max3_f32 v62, |v248|, |v249|, v62                        // 00000000CBC0: D1D3033E 04FBF3F8
	v_max3_f32 v62, |v250|, |v251|, v62                        // 00000000CBC8: D1D3033E 04FBF7FA
	v_max3_f32 v62, |v252|, |v253|, v62                        // 00000000CBD0: D1D3033E 04FBFBFC
	v_max3_f32 v62, |v254|, |v255|, v62                        // 00000000CBD8: D1D3033E 04FBFFFE
	buffer_load_dwordx4 a[76:79], v36, s[20:23], 0 offen       // 00000000CBE0: E05C1000 80854C24
	ds_write_b32 v11, v62 offset:20992                         // 00000000CBE8: D81A5200 00003E0B
	v_sub_f32_e32 v63, v14, v18                                // 00000000CBF0: 047E250E
	v_cndmask_b32_e64 v63, v63, 0, s[40:41]                    // 00000000CBF4: D100003F 00A1013F
	v_mov_b32_e32 v14, v18                                     // 00000000CBFC: 7E1C0312
	v_mul_f32_e32 v63, s64, v63                                // 00000000CC00: 0A7E7E40
	v_exp_f32_e32 v63, v63                                     // 00000000CC04: 7E7E413F
	s_waitcnt lgkmcnt(0)                                       // 00000000CC08: BF8CC07F
	s_barrier                                                  // 00000000CC0C: BF8A0000
	ds_read_b32 v80, v10 offset:20992                          // 00000000CC10: D86C5200 5000000A
	ds_read_b32 v81, v10 offset:21056                          // 00000000CC18: D86C5240 5100000A
	ds_read_b32 v82, v10 offset:21120                          // 00000000CC20: D86C5280 5200000A
	ds_read_b32 v83, v10 offset:21184                          // 00000000CC28: D86C52C0 5300000A
	ds_read_b32 v84, v10 offset:21248                          // 00000000CC30: D86C5300 5400000A
	ds_read_b32 v85, v10 offset:21312                          // 00000000CC38: D86C5340 5500000A
	ds_read_b32 v86, v10 offset:21376                          // 00000000CC40: D86C5380 5600000A
	ds_read_b32 v87, v10 offset:21440                          // 00000000CC48: D86C53C0 5700000A
	ds_read_b32 v88, v10 offset:21504                          // 00000000CC50: D86C5400 5800000A
	ds_read_b32 v89, v10 offset:21568                          // 00000000CC58: D86C5440 5900000A
	ds_read_b32 v90, v10 offset:21632                          // 00000000CC60: D86C5480 5A00000A
	ds_read_b32 v91, v10 offset:21696                          // 00000000CC68: D86C54C0 5B00000A
	ds_read_b32 v92, v10 offset:21760                          // 00000000CC70: D86C5500 5C00000A
	ds_read_b32 v93, v10 offset:21824                          // 00000000CC78: D86C5540 5D00000A
	ds_read_b32 v94, v10 offset:21888                          // 00000000CC80: D86C5580 5E00000A
	ds_read_b32 v95, v10 offset:21952                          // 00000000CC88: D86C55C0 5F00000A
	v_mul_f32_e32 v47, v63, v47                                // 00000000CC90: 0A5E5F3F
	v_mov_b32_e32 v18, v128                                    // 00000000CC94: 7E240380
	v_add_f32_e32 v18, v129, v18                               // 00000000CC98: 02242581
	v_add_f32_e32 v18, v130, v18                               // 00000000CC9C: 02242582
	v_add_f32_e32 v18, v131, v18                               // 00000000CCA0: 02242583
	v_add_f32_e32 v18, v132, v18                               // 00000000CCA4: 02242584
	v_add_f32_e32 v18, v133, v18                               // 00000000CCA8: 02242585
	v_add_f32_e32 v18, v134, v18                               // 00000000CCAC: 02242586
	v_add_f32_e32 v18, v135, v18                               // 00000000CCB0: 02242587
	v_add_f32_e32 v18, v136, v18                               // 00000000CCB4: 02242588
	v_add_f32_e32 v18, v137, v18                               // 00000000CCB8: 02242589
	v_add_f32_e32 v18, v138, v18                               // 00000000CCBC: 0224258A
	v_add_f32_e32 v18, v139, v18                               // 00000000CCC0: 0224258B
	v_add_f32_e32 v18, v140, v18                               // 00000000CCC4: 0224258C
	v_add_f32_e32 v18, v141, v18                               // 00000000CCC8: 0224258D
	v_add_f32_e32 v18, v142, v18                               // 00000000CCCC: 0224258E
	v_add_f32_e32 v18, v143, v18                               // 00000000CCD0: 0224258F
	v_add_f32_e32 v47, v18, v47                                // 00000000CCD4: 025E5F12
	s_waitcnt lgkmcnt(0)                                       // 00000000CCD8: BF8CC07F
	v_max3_f32 v62, |v80|, |v81|, v62                          // 00000000CCDC: D1D3033E 04FAA350
	v_max3_f32 v62, |v82|, |v83|, v62                          // 00000000CCE4: D1D3033E 04FAA752
	v_max3_f32 v62, |v84|, |v85|, v62                          // 00000000CCEC: D1D3033E 04FAAB54
	v_max3_f32 v62, |v86|, |v87|, v62                          // 00000000CCF4: D1D3033E 04FAAF56
	v_max3_f32 v62, |v88|, |v89|, v62                          // 00000000CCFC: D1D3033E 04FAB358
	v_max3_f32 v62, |v90|, |v91|, v62                          // 00000000CD04: D1D3033E 04FAB75A
	v_max3_f32 v62, |v92|, |v93|, v62                          // 00000000CD0C: D1D3033E 04FABB5C
	v_max3_f32 v62, |v94|, |v95|, v62                          // 00000000CD14: D1D3033E 04FABF5E
	s_nop 2                                                    // 00000000CD1C: BF800002
	v_rcp_f32_e32 v62, v62                                     // 00000000CD20: 7E7C453E
	s_nop 1                                                    // 00000000CD24: BF800001
	v_mul_f32_e32 v62, 0x43e00000, v62                         // 00000000CD28: 0A7C7CFF 43E00000
	v_mul_f32_e32 v128, v62, v240                              // 00000000CD30: 0B01E13E
	v_mul_f32_e32 v129, v62, v241                              // 00000000CD34: 0B03E33E
	v_mul_f32_e32 v130, v62, v242                              // 00000000CD38: 0B05E53E
	v_mul_f32_e32 v131, v62, v243                              // 00000000CD3C: 0B07E73E
	v_mul_f32_e32 v132, v62, v244                              // 00000000CD40: 0B09E93E
	v_mul_f32_e32 v133, v62, v245                              // 00000000CD44: 0B0BEB3E
	v_mul_f32_e32 v134, v62, v246                              // 00000000CD48: 0B0DED3E
	v_mul_f32_e32 v135, v62, v247                              // 00000000CD4C: 0B0FEF3E
	v_mul_f32_e32 v136, v62, v248                              // 00000000CD50: 0B11F13E
	v_mul_f32_e32 v137, v62, v249                              // 00000000CD54: 0B13F33E
	v_mul_f32_e32 v138, v62, v250                              // 00000000CD58: 0B15F53E
	v_mul_f32_e32 v139, v62, v251                              // 00000000CD5C: 0B17F73E
	v_mul_f32_e32 v140, v62, v252                              // 00000000CD60: 0B19F93E
	v_mul_f32_e32 v141, v62, v253                              // 00000000CD64: 0B1BFB3E
	v_mul_f32_e32 v142, v62, v254                              // 00000000CD68: 0B1DFD3E
	v_mul_f32_e32 v143, v62, v255                              // 00000000CD6C: 0B1FFF3E
	v_cvt_pk_fp8_f32 v128, v128, v129                          // 00000000CD70: D2A20080 00030380
	v_cvt_pk_fp8_f32 v128, v130, v131 op_sel:[0,0,1]           // 00000000CD78: D2A24080 00030782
	v_cvt_pk_fp8_f32 v129, v132, v133                          // 00000000CD80: D2A20081 00030B84
	v_cvt_pk_fp8_f32 v129, v134, v135 op_sel:[0,0,1]           // 00000000CD88: D2A24081 00030F86
	v_cvt_pk_fp8_f32 v130, v136, v137                          // 00000000CD90: D2A20082 00031388
	v_cvt_pk_fp8_f32 v130, v138, v139 op_sel:[0,0,1]           // 00000000CD98: D2A24082 0003178A
	v_cvt_pk_fp8_f32 v131, v140, v141                          // 00000000CDA0: D2A20083 00031B8C
	v_cvt_pk_fp8_f32 v131, v142, v143 op_sel:[0,0,1]           // 00000000CDA8: D2A24083 00031F8E
	ds_write_b32 v13, v128 offset:25088                        // 00000000CDB0: D81A6200 0000800D
	ds_write_b32 v13, v129 offset:26112                        // 00000000CDB8: D81A6600 0000810D
	ds_write_b32 v13, v130 offset:27136                        // 00000000CDC0: D81A6A00 0000820D
	ds_write_b32 v13, v131 offset:28160                        // 00000000CDC8: D81A6E00 0000830D
	v_add_f32_e32 v224, v224, v192                             // 00000000CDD0: 03C181E0
	v_add_f32_e32 v225, v225, v193                             // 00000000CDD4: 03C383E1
	v_add_f32_e32 v226, v226, v194                             // 00000000CDD8: 03C585E2
	v_add_f32_e32 v227, v227, v195                             // 00000000CDDC: 03C787E3
	v_add_f32_e32 v228, v228, v196                             // 00000000CDE0: 03C989E4
	v_add_f32_e32 v229, v229, v197                             // 00000000CDE4: 03CB8BE5
	v_add_f32_e32 v230, v230, v198                             // 00000000CDE8: 03CD8DE6
	v_add_f32_e32 v231, v231, v199                             // 00000000CDEC: 03CF8FE7
	v_rcp_f32_e32 v58, v62                                     // 00000000CDF0: 7E74453E
	s_waitcnt lgkmcnt(0)                                       // 00000000CDF4: BF8CC07F
	s_barrier                                                  // 00000000CDF8: BF8A0000
	ds_read_b64 v[128:129], v12 offset:25088                   // 00000000CDFC: D8EC6200 8000000C
	ds_read_b64 v[130:131], v12 offset:25216                   // 00000000CE04: D8EC6280 8200000C
	ds_read_b64 v[132:133], v12 offset:26112                   // 00000000CE0C: D8EC6600 8400000C
	ds_read_b64 v[134:135], v12 offset:26240                   // 00000000CE14: D8EC6680 8600000C
	ds_read_b64 v[136:137], v12 offset:27136                   // 00000000CE1C: D8EC6A00 8800000C
	ds_read_b64 v[138:139], v12 offset:27264                   // 00000000CE24: D8EC6A80 8A00000C
	ds_read_b64 v[140:141], v12 offset:28160                   // 00000000CE2C: D8EC6E00 8C00000C
	ds_read_b64 v[142:143], v12 offset:28288                   // 00000000CE34: D8EC6E80 8E00000C
	v_mov_b32_dpp v41, v53 row_shr:4 row_mask:0xf bank_mask:0xf// 00000000CE3C: 7E5202FA FF011435
	v_mov_b32_dpp v42, v53 row_shl:4 row_mask:0xf bank_mask:0xf// 00000000CE44: 7E5402FA FF010435
	v_cndmask_b32_e64 v248, v53, v41, s[44:45]                 // 00000000CE4C: D10000F8 00B25335
	v_cndmask_b32_e64 v249, v42, v53, s[44:45]                 // 00000000CE54: D10000F9 00B26B2A
	v_mov_b32_dpp v41, v248 row_shr:8 row_mask:0xf bank_mask:0xf// 00000000CE5C: 7E5202FA FF0118F8
	v_mov_b32_dpp v42, v248 row_shl:8 row_mask:0xf bank_mask:0xf// 00000000CE64: 7E5402FA FF0108F8
	v_mov_b32_dpp v43, v249 row_shr:8 row_mask:0xf bank_mask:0xf// 00000000CE6C: 7E5602FA FF0118F9
	v_mov_b32_dpp v44, v249 row_shl:8 row_mask:0xf bank_mask:0xf// 00000000CE74: 7E5802FA FF0108F9
	v_mov_b32_e32 v45, v248                                    // 00000000CE7C: 7E5A03F8
	v_mov_b32_e32 v46, v249                                    // 00000000CE80: 7E5C03F9
	v_cndmask_b32_e64 v248, v45, v41, s[42:43]                 // 00000000CE84: D10000F8 00AA532D
	v_cndmask_b32_e64 v250, v45, v42, s[78:79]                 // 00000000CE8C: D10000FA 013A552D
	v_cndmask_b32_e64 v249, v46, v43, s[42:43]                 // 00000000CE94: D10000F9 00AA572E
	v_cndmask_b32_e64 v251, v46, v44, s[78:79]                 // 00000000CE9C: D10000FB 013A592E
	v_mov_b32_dpp v41, v73 row_shr:4 row_mask:0xf bank_mask:0xf// 00000000CEA4: 7E5202FA FF011449
	v_mov_b32_dpp v42, v73 row_shl:4 row_mask:0xf bank_mask:0xf// 00000000CEAC: 7E5402FA FF010449
	v_cndmask_b32_e64 v252, v73, v41, s[44:45]                 // 00000000CEB4: D10000FC 00B25349
	v_cndmask_b32_e64 v253, v42, v73, s[44:45]                 // 00000000CEBC: D10000FD 00B2932A
	v_mov_b32_dpp v41, v252 row_shr:8 row_mask:0xf bank_mask:0xf// 00000000CEC4: 7E5202FA FF0118FC
	v_mov_b32_dpp v42, v252 row_shl:8 row_mask:0xf bank_mask:0xf// 00000000CECC: 7E5402FA FF0108FC
	v_mov_b32_dpp v43, v253 row_shr:8 row_mask:0xf bank_mask:0xf// 00000000CED4: 7E5602FA FF0118FD
	v_mov_b32_dpp v44, v253 row_shl:8 row_mask:0xf bank_mask:0xf// 00000000CEDC: 7E5802FA FF0108FD
	v_mov_b32_e32 v45, v252                                    // 00000000CEE4: 7E5A03FC
	v_mov_b32_e32 v46, v253                                    // 00000000CEE8: 7E5C03FD
	v_cndmask_b32_e64 v252, v45, v41, s[42:43]                 // 00000000CEEC: D10000FC 00AA532D
	v_cndmask_b32_e64 v254, v45, v42, s[78:79]                 // 00000000CEF4: D10000FE 013A552D
	v_cndmask_b32_e64 v253, v46, v43, s[42:43]                 // 00000000CEFC: D10000FD 00AA572E
	v_cndmask_b32_e64 v255, v46, v44, s[78:79]                 // 00000000CF04: D10000FF 013A592E
	v_mul_f32_e32 v144, v55, v144                              // 00000000CF0C: 0B212137
	v_mul_f32_e32 v145, v55, v145                              // 00000000CF10: 0B232337
	v_mul_f32_e32 v146, v55, v146                              // 00000000CF14: 0B252537
	v_mul_f32_e32 v147, v55, v147                              // 00000000CF18: 0B272737
	v_mul_f32_e32 v148, v55, v148                              // 00000000CF1C: 0B292937
	v_mul_f32_e32 v149, v55, v149                              // 00000000CF20: 0B2B2B37
	v_mul_f32_e32 v150, v55, v150                              // 00000000CF24: 0B2D2D37
	v_mul_f32_e32 v151, v55, v151                              // 00000000CF28: 0B2F2F37
	v_mul_f32_e32 v152, v55, v152                              // 00000000CF2C: 0B313137
	v_mul_f32_e32 v153, v55, v153                              // 00000000CF30: 0B333337
	v_mul_f32_e32 v154, v55, v154                              // 00000000CF34: 0B353537
	v_mul_f32_e32 v155, v55, v155                              // 00000000CF38: 0B373737
	v_mul_f32_e32 v156, v55, v156                              // 00000000CF3C: 0B393937
	v_mul_f32_e32 v157, v55, v157                              // 00000000CF40: 0B3B3B37
	v_mul_f32_e32 v158, v55, v158                              // 00000000CF44: 0B3D3D37
	v_mul_f32_e32 v159, v55, v159                              // 00000000CF48: 0B3F3F37
	v_mul_f32_dpp v144, v248, v144 quad_perm:[0,0,0,0] row_mask:0xf bank_mask:0xf// 00000000CF4C: 0B2120FA FF0000F8
	v_mul_f32_dpp v145, v248, v145 quad_perm:[1,1,1,1] row_mask:0xf bank_mask:0xf// 00000000CF54: 0B2322FA FF0055F8
	v_mul_f32_dpp v146, v248, v146 quad_perm:[2,2,2,2] row_mask:0xf bank_mask:0xf// 00000000CF5C: 0B2524FA FF00AAF8
	v_mul_f32_dpp v147, v248, v147 quad_perm:[3,3,3,3] row_mask:0xf bank_mask:0xf// 00000000CF64: 0B2726FA FF00FFF8
	v_mul_f32_dpp v148, v249, v148 quad_perm:[0,0,0,0] row_mask:0xf bank_mask:0xf// 00000000CF6C: 0B2928FA FF0000F9
	v_mul_f32_dpp v149, v249, v149 quad_perm:[1,1,1,1] row_mask:0xf bank_mask:0xf// 00000000CF74: 0B2B2AFA FF0055F9
	v_mul_f32_dpp v150, v249, v150 quad_perm:[2,2,2,2] row_mask:0xf bank_mask:0xf// 00000000CF7C: 0B2D2CFA FF00AAF9
	v_mul_f32_dpp v151, v249, v151 quad_perm:[3,3,3,3] row_mask:0xf bank_mask:0xf// 00000000CF84: 0B2F2EFA FF00FFF9
	v_mul_f32_dpp v152, v250, v152 quad_perm:[0,0,0,0] row_mask:0xf bank_mask:0xf// 00000000CF8C: 0B3130FA FF0000FA
	v_mul_f32_dpp v153, v250, v153 quad_perm:[1,1,1,1] row_mask:0xf bank_mask:0xf// 00000000CF94: 0B3332FA FF0055FA
	v_mul_f32_dpp v154, v250, v154 quad_perm:[2,2,2,2] row_mask:0xf bank_mask:0xf// 00000000CF9C: 0B3534FA FF00AAFA
	v_mul_f32_dpp v155, v250, v155 quad_perm:[3,3,3,3] row_mask:0xf bank_mask:0xf// 00000000CFA4: 0B3736FA FF00FFFA
	v_mul_f32_dpp v156, v251, v156 quad_perm:[0,0,0,0] row_mask:0xf bank_mask:0xf// 00000000CFAC: 0B3938FA FF0000FB
	v_mul_f32_dpp v157, v251, v157 quad_perm:[1,1,1,1] row_mask:0xf bank_mask:0xf// 00000000CFB4: 0B3B3AFA FF0055FB
	v_mul_f32_dpp v158, v251, v158 quad_perm:[2,2,2,2] row_mask:0xf bank_mask:0xf// 00000000CFBC: 0B3D3CFA FF00AAFB
	v_mul_f32_dpp v159, v251, v159 quad_perm:[3,3,3,3] row_mask:0xf bank_mask:0xf// 00000000CFC4: 0B3F3EFA FF00FFFB
	s_cmp_le_i32 s90, s89                                      // 00000000CFCC: BF05595A
	s_cbranch_scc1 label_2BE8                                  // 00000000CFD0: BF850073
	v_mov_b32_e32 v69, 0xff800000                              // 00000000CFD4: 7E8A02FF FF800000
	s_mov_b32 s60, s90                                         // 00000000CFDC: BEBC005A
	s_add_u32 s61, s89, 0xff                                   // 00000000CFE0: 803DFF59 000000FF
	v_mov_b32_e32 v41, s61                                     // 00000000CFE8: 7E52023D
	v_lshrrev_b32_e32 v240, 4, v0                              // 00000000CFEC: 21E00084
	v_mul_i32_i24_e32 v240, 4, v240                            // 00000000CFF0: 0DE1E084
	v_add_u32_e32 v240, s60, v240                              // 00000000CFF4: 69E1E03C
	v_and_b32_e32 v42, 15, v0                                  // 00000000CFF8: 2654008F
	v_lshrrev_b32_e32 v42, 3, v42                              // 00000000CFFC: 20545483
	s_mov_b32 s61, 2                                           // 00000000D000: BEBD0082
	s_mul_i32 s60, 16, s7                                      // 00000000D004: 923C0790
	v_add_u32_e32 v42, s61, v42                                // 00000000D008: 6854543D
	v_sub_u32_e32 v240, v240, v42                              // 00000000D00C: 6BE055F0
	v_add_u32_e32 v240, s60, v240                              // 00000000D010: 69E1E03C
	v_add_u32_e32 v241, 1, v240                                // 00000000D014: 69E3E081
	v_add_u32_e32 v242, 2, v240                                // 00000000D018: 69E5E082
	v_add_u32_e32 v243, 3, v240                                // 00000000D01C: 69E7E083
	v_cmp_le_u32_e64 s[40:41], v240, v41                       // 00000000D020: D0CB0028 000253F0
	v_add_u32_e32 v240, 64, v240                               // 00000000D028: 69E1E0C0
	s_nop 0                                                    // 00000000D02C: BF800000
	v_cndmask_b32_e64 v144, v69, v144, s[40:41]                // 00000000D030: D1000090 00A32145
	v_cmp_le_u32_e64 s[40:41], v241, v41                       // 00000000D038: D0CB0028 000253F1
	v_add_u32_e32 v241, 64, v241                               // 00000000D040: 69E3E2C0
	s_nop 0                                                    // 00000000D044: BF800000
	v_cndmask_b32_e64 v145, v69, v145, s[40:41]                // 00000000D048: D1000091 00A32345
	v_cmp_le_u32_e64 s[40:41], v242, v41                       // 00000000D050: D0CB0028 000253F2
	v_add_u32_e32 v242, 64, v242                               // 00000000D058: 69E5E4C0
	s_nop 0                                                    // 00000000D05C: BF800000
	v_cndmask_b32_e64 v146, v69, v146, s[40:41]                // 00000000D060: D1000092 00A32545
	v_cmp_le_u32_e64 s[40:41], v243, v41                       // 00000000D068: D0CB0028 000253F3
	v_add_u32_e32 v243, 64, v243                               // 00000000D070: 69E7E6C0
	s_nop 0                                                    // 00000000D074: BF800000
	v_cndmask_b32_e64 v147, v69, v147, s[40:41]                // 00000000D078: D1000093 00A32745
	v_cmp_le_u32_e64 s[40:41], v240, v41                       // 00000000D080: D0CB0028 000253F0
	v_add_u32_e32 v240, 64, v240                               // 00000000D088: 69E1E0C0
	s_nop 0                                                    // 00000000D08C: BF800000
	v_cndmask_b32_e64 v148, v69, v148, s[40:41]                // 00000000D090: D1000094 00A32945
	v_cmp_le_u32_e64 s[40:41], v241, v41                       // 00000000D098: D0CB0028 000253F1
	v_add_u32_e32 v241, 64, v241                               // 00000000D0A0: 69E3E2C0
	s_nop 0                                                    // 00000000D0A4: BF800000
	v_cndmask_b32_e64 v149, v69, v149, s[40:41]                // 00000000D0A8: D1000095 00A32B45
	v_cmp_le_u32_e64 s[40:41], v242, v41                       // 00000000D0B0: D0CB0028 000253F2
	v_add_u32_e32 v242, 64, v242                               // 00000000D0B8: 69E5E4C0
	s_nop 0                                                    // 00000000D0BC: BF800000
	v_cndmask_b32_e64 v150, v69, v150, s[40:41]                // 00000000D0C0: D1000096 00A32D45
	v_cmp_le_u32_e64 s[40:41], v243, v41                       // 00000000D0C8: D0CB0028 000253F3
	v_add_u32_e32 v243, 64, v243                               // 00000000D0D0: 69E7E6C0
	s_nop 0                                                    // 00000000D0D4: BF800000
	v_cndmask_b32_e64 v151, v69, v151, s[40:41]                // 00000000D0D8: D1000097 00A32F45
	v_cmp_le_u32_e64 s[40:41], v240, v41                       // 00000000D0E0: D0CB0028 000253F0
	v_add_u32_e32 v240, 64, v240                               // 00000000D0E8: 69E1E0C0
	s_nop 0                                                    // 00000000D0EC: BF800000
	v_cndmask_b32_e64 v152, v69, v152, s[40:41]                // 00000000D0F0: D1000098 00A33145
	v_cmp_le_u32_e64 s[40:41], v241, v41                       // 00000000D0F8: D0CB0028 000253F1
	v_add_u32_e32 v241, 64, v241                               // 00000000D100: 69E3E2C0
	s_nop 0                                                    // 00000000D104: BF800000
	v_cndmask_b32_e64 v153, v69, v153, s[40:41]                // 00000000D108: D1000099 00A33345
	v_cmp_le_u32_e64 s[40:41], v242, v41                       // 00000000D110: D0CB0028 000253F2
	v_add_u32_e32 v242, 64, v242                               // 00000000D118: 69E5E4C0
	s_nop 0                                                    // 00000000D11C: BF800000
	v_cndmask_b32_e64 v154, v69, v154, s[40:41]                // 00000000D120: D100009A 00A33545
	v_cmp_le_u32_e64 s[40:41], v243, v41                       // 00000000D128: D0CB0028 000253F3
	v_add_u32_e32 v243, 64, v243                               // 00000000D130: 69E7E6C0
	s_nop 0                                                    // 00000000D134: BF800000
	v_cndmask_b32_e64 v155, v69, v155, s[40:41]                // 00000000D138: D100009B 00A33745
	v_cmp_le_u32_e64 s[40:41], v240, v41                       // 00000000D140: D0CB0028 000253F0
	v_add_u32_e32 v240, 64, v240                               // 00000000D148: 69E1E0C0
	s_nop 0                                                    // 00000000D14C: BF800000
	v_cndmask_b32_e64 v156, v69, v156, s[40:41]                // 00000000D150: D100009C 00A33945
	v_cmp_le_u32_e64 s[40:41], v241, v41                       // 00000000D158: D0CB0028 000253F1
	v_add_u32_e32 v241, 64, v241                               // 00000000D160: 69E3E2C0
	s_nop 0                                                    // 00000000D164: BF800000
	v_cndmask_b32_e64 v157, v69, v157, s[40:41]                // 00000000D168: D100009D 00A33B45
	v_cmp_le_u32_e64 s[40:41], v242, v41                       // 00000000D170: D0CB0028 000253F2
	v_add_u32_e32 v242, 64, v242                               // 00000000D178: 69E5E4C0
	s_nop 0                                                    // 00000000D17C: BF800000
	v_cndmask_b32_e64 v158, v69, v158, s[40:41]                // 00000000D180: D100009E 00A33D45
	v_cmp_le_u32_e64 s[40:41], v243, v41                       // 00000000D188: D0CB0028 000253F3
	v_add_u32_e32 v243, 64, v243                               // 00000000D190: 69E7E6C0
	s_nop 0                                                    // 00000000D194: BF800000
	v_cndmask_b32_e64 v159, v69, v159, s[40:41]                // 00000000D198: D100009F 00A33F45

000000000000d1a0 <label_2BE8>:
	s_add_u32 s90, s91, s90                                    // 00000000D1A0: 805A5A5B
	v_mov_b32_e32 v62, v144                                    // 00000000D1A4: 7E7C0390
	v_max3_f32 v62, v144, v145, v62                            // 00000000D1A8: D1D3003E 04FB2390
	v_max3_f32 v62, v146, v147, v62                            // 00000000D1B0: D1D3003E 04FB2792
	v_max3_f32 v62, v148, v149, v62                            // 00000000D1B8: D1D3003E 04FB2B94
	v_max3_f32 v62, v150, v151, v62                            // 00000000D1C0: D1D3003E 04FB2F96
	v_max3_f32 v62, v152, v153, v62                            // 00000000D1C8: D1D3003E 04FB3398
	v_max3_f32 v62, v154, v155, v62                            // 00000000D1D0: D1D3003E 04FB379A
	v_max3_f32 v62, v156, v157, v62                            // 00000000D1D8: D1D3003E 04FB3B9C
	v_max3_f32 v62, v158, v159, v62                            // 00000000D1E0: D1D3003E 04FB3F9E
	ds_write_b32 v11, v62 offset:16896                         // 00000000D1E8: D81A4200 00003E0B
	v_mul_f32_e32 v232, v64, v232                              // 00000000D1F0: 0BD1D140
	v_mul_f32_e32 v233, v64, v233                              // 00000000D1F4: 0BD3D340
	v_mul_f32_e32 v234, v64, v234                              // 00000000D1F8: 0BD5D540
	v_mul_f32_e32 v235, v64, v235                              // 00000000D1FC: 0BD7D740
	v_mul_f32_e32 v236, v64, v236                              // 00000000D200: 0BD9D940
	v_mul_f32_e32 v237, v64, v237                              // 00000000D204: 0BDBDB40
	v_mul_f32_e32 v238, v64, v238                              // 00000000D208: 0BDDDD40
	v_mul_f32_e32 v239, v64, v239                              // 00000000D20C: 0BDFDF40
	s_waitcnt lgkmcnt(0)                                       // 00000000D210: BF8CC07F
	s_barrier                                                  // 00000000D214: BF8A0000
	ds_read_b32 v80, v10 offset:16896                          // 00000000D218: D86C4200 5000000A
	ds_read_b32 v81, v10 offset:16960                          // 00000000D220: D86C4240 5100000A
	ds_read_b32 v82, v10 offset:17024                          // 00000000D228: D86C4280 5200000A
	ds_read_b32 v83, v10 offset:17088                          // 00000000D230: D86C42C0 5300000A
	ds_read_b32 v84, v10 offset:17152                          // 00000000D238: D86C4300 5400000A
	ds_read_b32 v85, v10 offset:17216                          // 00000000D240: D86C4340 5500000A
	ds_read_b32 v86, v10 offset:17280                          // 00000000D248: D86C4380 5600000A
	ds_read_b32 v87, v10 offset:17344                          // 00000000D250: D86C43C0 5700000A
	ds_read_b32 v88, v10 offset:17408                          // 00000000D258: D86C4400 5800000A
	ds_read_b32 v89, v10 offset:17472                          // 00000000D260: D86C4440 5900000A
	ds_read_b32 v90, v10 offset:17536                          // 00000000D268: D86C4480 5A00000A
	ds_read_b32 v91, v10 offset:17600                          // 00000000D270: D86C44C0 5B00000A
	ds_read_b32 v92, v10 offset:17664                          // 00000000D278: D86C4500 5C00000A
	ds_read_b32 v93, v10 offset:17728                          // 00000000D280: D86C4540 5D00000A
	ds_read_b32 v94, v10 offset:17792                          // 00000000D288: D86C4580 5E00000A
	ds_read_b32 v95, v10 offset:17856                          // 00000000D290: D86C45C0 5F00000A
	v_mul_f32_e32 v200, v59, v200                              // 00000000D298: 0B91913B
	v_mul_f32_e32 v201, v59, v201                              // 00000000D29C: 0B93933B
	v_mul_f32_e32 v202, v59, v202                              // 00000000D2A0: 0B95953B
	v_mul_f32_e32 v203, v59, v203                              // 00000000D2A4: 0B97973B
	v_mul_f32_e32 v204, v59, v204                              // 00000000D2A8: 0B99993B
	v_mul_f32_e32 v205, v59, v205                              // 00000000D2AC: 0B9B9B3B
	v_mul_f32_e32 v206, v59, v206                              // 00000000D2B0: 0B9D9D3B
	v_mul_f32_e32 v207, v59, v207                              // 00000000D2B4: 0B9F9F3B
	s_waitcnt lgkmcnt(0)                                       // 00000000D2B8: BF8CC07F
	v_max3_f32 v62, v80, v81, v62                              // 00000000D2BC: D1D3003E 04FAA350
	v_max3_f32 v62, v82, v83, v62                              // 00000000D2C4: D1D3003E 04FAA752
	v_max3_f32 v62, v84, v85, v62                              // 00000000D2CC: D1D3003E 04FAAB54
	v_max3_f32 v62, v86, v87, v62                              // 00000000D2D4: D1D3003E 04FAAF56
	v_max3_f32 v62, v88, v89, v62                              // 00000000D2DC: D1D3003E 04FAB358
	v_max3_f32 v62, v90, v91, v62                              // 00000000D2E4: D1D3003E 04FAB75A
	v_max3_f32 v62, v92, v93, v62                              // 00000000D2EC: D1D3003E 04FABB5C
	v_max3_f32 v62, v94, v95, v62                              // 00000000D2F4: D1D3003E 04FABF5E
	v_mov_b32_e32 v41, 0xff800000                              // 00000000D2FC: 7E5202FF FF800000
	v_cmp_eq_u32_e64 s[40:41], v41, v15                        // 00000000D304: D0CA0028 00021F29
	s_nop 1                                                    // 00000000D30C: BF800001
	v_max_f32_e32 v18, v62, v15                                // 00000000D310: 16241F3E
	v_mul_f32_e32 v67, s64, v18                                // 00000000D314: 0A862440
	v_fma_f32 v144, v144, s64, -v67                            // 00000000D318: D1CB0090 850C8190
	v_fma_f32 v145, v145, s64, -v67                            // 00000000D320: D1CB0091 850C8191
	v_fma_f32 v146, v146, s64, -v67                            // 00000000D328: D1CB0092 850C8192
	v_fma_f32 v147, v147, s64, -v67                            // 00000000D330: D1CB0093 850C8193
	v_fma_f32 v148, v148, s64, -v67                            // 00000000D338: D1CB0094 850C8194
	v_fma_f32 v149, v149, s64, -v67                            // 00000000D340: D1CB0095 850C8195
	v_fma_f32 v150, v150, s64, -v67                            // 00000000D348: D1CB0096 850C8196
	v_fma_f32 v151, v151, s64, -v67                            // 00000000D350: D1CB0097 850C8197
	v_fma_f32 v152, v152, s64, -v67                            // 00000000D358: D1CB0098 850C8198
	v_fma_f32 v153, v153, s64, -v67                            // 00000000D360: D1CB0099 850C8199
	v_fma_f32 v154, v154, s64, -v67                            // 00000000D368: D1CB009A 850C819A
	v_fma_f32 v155, v155, s64, -v67                            // 00000000D370: D1CB009B 850C819B
	v_fma_f32 v156, v156, s64, -v67                            // 00000000D378: D1CB009C 850C819C
	v_fma_f32 v157, v157, s64, -v67                            // 00000000D380: D1CB009D 850C819D
	v_fma_f32 v158, v158, s64, -v67                            // 00000000D388: D1CB009E 850C819E
	v_fma_f32 v159, v159, s64, -v67                            // 00000000D390: D1CB009F 850C819F
	v_exp_f32_e32 v144, v144                                   // 00000000D398: 7F204190
	v_exp_f32_e32 v145, v145                                   // 00000000D39C: 7F224191
	v_exp_f32_e32 v146, v146                                   // 00000000D3A0: 7F244192
	v_exp_f32_e32 v147, v147                                   // 00000000D3A4: 7F264193
	v_exp_f32_e32 v148, v148                                   // 00000000D3A8: 7F284194
	v_exp_f32_e32 v149, v149                                   // 00000000D3AC: 7F2A4195
	v_exp_f32_e32 v150, v150                                   // 00000000D3B0: 7F2C4196
	v_exp_f32_e32 v151, v151                                   // 00000000D3B4: 7F2E4197
	v_exp_f32_e32 v152, v152                                   // 00000000D3B8: 7F304198
	v_exp_f32_e32 v153, v153                                   // 00000000D3BC: 7F324199
	v_exp_f32_e32 v154, v154                                   // 00000000D3C0: 7F34419A
	v_exp_f32_e32 v155, v155                                   // 00000000D3C4: 7F36419B
	v_exp_f32_e32 v156, v156                                   // 00000000D3C8: 7F38419C
	v_exp_f32_e32 v157, v157                                   // 00000000D3CC: 7F3A419D
	v_exp_f32_e32 v158, v158                                   // 00000000D3D0: 7F3C419E
	v_exp_f32_e32 v159, v159                                   // 00000000D3D4: 7F3E419F
	v_mul_f32_dpp v240, v252, v144 quad_perm:[0,0,0,0] row_mask:0xf bank_mask:0xf// 00000000D3D8: 0BE120FA FF0000FC
	v_mul_f32_dpp v241, v252, v145 quad_perm:[1,1,1,1] row_mask:0xf bank_mask:0xf// 00000000D3E0: 0BE322FA FF0055FC
	v_mul_f32_dpp v242, v252, v146 quad_perm:[2,2,2,2] row_mask:0xf bank_mask:0xf// 00000000D3E8: 0BE524FA FF00AAFC
	v_mul_f32_dpp v243, v252, v147 quad_perm:[3,3,3,3] row_mask:0xf bank_mask:0xf// 00000000D3F0: 0BE726FA FF00FFFC
	v_mul_f32_dpp v244, v253, v148 quad_perm:[0,0,0,0] row_mask:0xf bank_mask:0xf// 00000000D3F8: 0BE928FA FF0000FD
	v_mul_f32_dpp v245, v253, v149 quad_perm:[1,1,1,1] row_mask:0xf bank_mask:0xf// 00000000D400: 0BEB2AFA FF0055FD
	v_mul_f32_dpp v246, v253, v150 quad_perm:[2,2,2,2] row_mask:0xf bank_mask:0xf// 00000000D408: 0BED2CFA FF00AAFD
	v_mul_f32_dpp v247, v253, v151 quad_perm:[3,3,3,3] row_mask:0xf bank_mask:0xf// 00000000D410: 0BEF2EFA FF00FFFD
	v_mul_f32_dpp v248, v254, v152 quad_perm:[0,0,0,0] row_mask:0xf bank_mask:0xf// 00000000D418: 0BF130FA FF0000FE
	v_mul_f32_dpp v249, v254, v153 quad_perm:[1,1,1,1] row_mask:0xf bank_mask:0xf// 00000000D420: 0BF332FA FF0055FE
	v_mul_f32_dpp v250, v254, v154 quad_perm:[2,2,2,2] row_mask:0xf bank_mask:0xf// 00000000D428: 0BF534FA FF00AAFE
	v_mul_f32_dpp v251, v254, v155 quad_perm:[3,3,3,3] row_mask:0xf bank_mask:0xf// 00000000D430: 0BF736FA FF00FFFE
	v_mul_f32_dpp v252, v255, v156 quad_perm:[0,0,0,0] row_mask:0xf bank_mask:0xf// 00000000D438: 0BF938FA FF0000FF
	v_mul_f32_dpp v253, v255, v157 quad_perm:[1,1,1,1] row_mask:0xf bank_mask:0xf// 00000000D440: 0BFB3AFA FF0055FF
	v_mul_f32_dpp v254, v255, v158 quad_perm:[2,2,2,2] row_mask:0xf bank_mask:0xf// 00000000D448: 0BFD3CFA FF00AAFF
	v_mul_f32_dpp v255, v255, v159 quad_perm:[3,3,3,3] row_mask:0xf bank_mask:0xf// 00000000D450: 0BFF3EFA FF00FFFF
	v_mov_b32_e32 v62, 0x358637bd                              // 00000000D458: 7E7C02FF 358637BD
	v_max3_f32 v62, |v240|, |v241|, v62                        // 00000000D460: D1D3033E 04FBE3F0
	v_max3_f32 v62, |v242|, |v243|, v62                        // 00000000D468: D1D3033E 04FBE7F2
	v_max3_f32 v62, |v244|, |v245|, v62                        // 00000000D470: D1D3033E 04FBEBF4
	v_max3_f32 v62, |v246|, |v247|, v62                        // 00000000D478: D1D3033E 04FBEFF6
	v_max3_f32 v62, |v248|, |v249|, v62                        // 00000000D480: D1D3033E 04FBF3F8
	v_max3_f32 v62, |v250|, |v251|, v62                        // 00000000D488: D1D3033E 04FBF7FA
	v_max3_f32 v62, |v252|, |v253|, v62                        // 00000000D490: D1D3033E 04FBFBFC
	v_max3_f32 v62, |v254|, |v255|, v62                        // 00000000D498: D1D3033E 04FBFFFE
	ds_write_b32 v11, v62 offset:20992                         // 00000000D4A0: D81A5200 00003E0B
	v_sub_f32_e32 v64, v15, v18                                // 00000000D4A8: 0480250F
	v_cndmask_b32_e64 v64, v64, 0, s[40:41]                    // 00000000D4AC: D1000040 00A10140
	v_mov_b32_e32 v15, v18                                     // 00000000D4B4: 7E1E0312
	v_mul_f32_e32 v64, s64, v64                                // 00000000D4B8: 0A808040
	v_exp_f32_e32 v64, v64                                     // 00000000D4BC: 7E804140
	s_waitcnt lgkmcnt(0)                                       // 00000000D4C0: BF8CC07F
	s_barrier                                                  // 00000000D4C4: BF8A0000
	ds_read_b32 v80, v10 offset:20992                          // 00000000D4C8: D86C5200 5000000A
	ds_read_b32 v81, v10 offset:21056                          // 00000000D4D0: D86C5240 5100000A
	ds_read_b32 v82, v10 offset:21120                          // 00000000D4D8: D86C5280 5200000A
	ds_read_b32 v83, v10 offset:21184                          // 00000000D4E0: D86C52C0 5300000A
	ds_read_b32 v84, v10 offset:21248                          // 00000000D4E8: D86C5300 5400000A
	ds_read_b32 v85, v10 offset:21312                          // 00000000D4F0: D86C5340 5500000A
	ds_read_b32 v86, v10 offset:21376                          // 00000000D4F8: D86C5380 5600000A
	ds_read_b32 v87, v10 offset:21440                          // 00000000D500: D86C53C0 5700000A
	ds_read_b32 v88, v10 offset:21504                          // 00000000D508: D86C5400 5800000A
	ds_read_b32 v89, v10 offset:21568                          // 00000000D510: D86C5440 5900000A
	ds_read_b32 v90, v10 offset:21632                          // 00000000D518: D86C5480 5A00000A
	ds_read_b32 v91, v10 offset:21696                          // 00000000D520: D86C54C0 5B00000A
	ds_read_b32 v92, v10 offset:21760                          // 00000000D528: D86C5500 5C00000A
	ds_read_b32 v93, v10 offset:21824                          // 00000000D530: D86C5540 5D00000A
	ds_read_b32 v94, v10 offset:21888                          // 00000000D538: D86C5580 5E00000A
	ds_read_b32 v95, v10 offset:21952                          // 00000000D540: D86C55C0 5F00000A
	v_mul_f32_e32 v48, v64, v48                                // 00000000D548: 0A606140
	v_mov_b32_e32 v18, v144                                    // 00000000D54C: 7E240390
	v_add_f32_e32 v18, v145, v18                               // 00000000D550: 02242591
	v_add_f32_e32 v18, v146, v18                               // 00000000D554: 02242592
	v_add_f32_e32 v18, v147, v18                               // 00000000D558: 02242593
	v_add_f32_e32 v18, v148, v18                               // 00000000D55C: 02242594
	v_add_f32_e32 v18, v149, v18                               // 00000000D560: 02242595
	v_add_f32_e32 v18, v150, v18                               // 00000000D564: 02242596
	v_add_f32_e32 v18, v151, v18                               // 00000000D568: 02242597
	v_add_f32_e32 v18, v152, v18                               // 00000000D56C: 02242598
	v_add_f32_e32 v18, v153, v18                               // 00000000D570: 02242599
	v_add_f32_e32 v18, v154, v18                               // 00000000D574: 0224259A
	v_add_f32_e32 v18, v155, v18                               // 00000000D578: 0224259B
	v_add_f32_e32 v18, v156, v18                               // 00000000D57C: 0224259C
	v_add_f32_e32 v18, v157, v18                               // 00000000D580: 0224259D
	v_add_f32_e32 v18, v158, v18                               // 00000000D584: 0224259E
	v_add_f32_e32 v18, v159, v18                               // 00000000D588: 0224259F
	v_add_f32_e32 v48, v18, v48                                // 00000000D58C: 02606112
	s_waitcnt lgkmcnt(0)                                       // 00000000D590: BF8CC07F
	v_max3_f32 v62, |v80|, |v81|, v62                          // 00000000D594: D1D3033E 04FAA350
	v_max3_f32 v62, |v82|, |v83|, v62                          // 00000000D59C: D1D3033E 04FAA752
	v_max3_f32 v62, |v84|, |v85|, v62                          // 00000000D5A4: D1D3033E 04FAAB54
	v_max3_f32 v62, |v86|, |v87|, v62                          // 00000000D5AC: D1D3033E 04FAAF56
	v_max3_f32 v62, |v88|, |v89|, v62                          // 00000000D5B4: D1D3033E 04FAB358
	v_max3_f32 v62, |v90|, |v91|, v62                          // 00000000D5BC: D1D3033E 04FAB75A
	v_max3_f32 v62, |v92|, |v93|, v62                          // 00000000D5C4: D1D3033E 04FABB5C
	v_max3_f32 v62, |v94|, |v95|, v62                          // 00000000D5CC: D1D3033E 04FABF5E
	s_nop 2                                                    // 00000000D5D4: BF800002
	v_rcp_f32_e32 v62, v62                                     // 00000000D5D8: 7E7C453E
	s_nop 1                                                    // 00000000D5DC: BF800001
	v_mul_f32_e32 v62, 0x43e00000, v62                         // 00000000D5E0: 0A7C7CFF 43E00000
	v_mul_f32_e32 v144, v62, v240                              // 00000000D5E8: 0B21E13E
	v_mul_f32_e32 v145, v62, v241                              // 00000000D5EC: 0B23E33E
	v_mul_f32_e32 v146, v62, v242                              // 00000000D5F0: 0B25E53E
	v_mul_f32_e32 v147, v62, v243                              // 00000000D5F4: 0B27E73E
	v_mul_f32_e32 v148, v62, v244                              // 00000000D5F8: 0B29E93E
	v_mul_f32_e32 v149, v62, v245                              // 00000000D5FC: 0B2BEB3E
	v_mul_f32_e32 v150, v62, v246                              // 00000000D600: 0B2DED3E
	v_mul_f32_e32 v151, v62, v247                              // 00000000D604: 0B2FEF3E
	v_mul_f32_e32 v152, v62, v248                              // 00000000D608: 0B31F13E
	v_mul_f32_e32 v153, v62, v249                              // 00000000D60C: 0B33F33E
	v_mul_f32_e32 v154, v62, v250                              // 00000000D610: 0B35F53E
	v_mul_f32_e32 v155, v62, v251                              // 00000000D614: 0B37F73E
	v_mul_f32_e32 v156, v62, v252                              // 00000000D618: 0B39F93E
	v_mul_f32_e32 v157, v62, v253                              // 00000000D61C: 0B3BFB3E
	v_mul_f32_e32 v158, v62, v254                              // 00000000D620: 0B3DFD3E
	v_mul_f32_e32 v159, v62, v255                              // 00000000D624: 0B3FFF3E
	v_cvt_pk_fp8_f32 v144, v144, v145                          // 00000000D628: D2A20090 00032390
	v_cvt_pk_fp8_f32 v144, v146, v147 op_sel:[0,0,1]           // 00000000D630: D2A24090 00032792
	v_cvt_pk_fp8_f32 v145, v148, v149                          // 00000000D638: D2A20091 00032B94
	v_cvt_pk_fp8_f32 v145, v150, v151 op_sel:[0,0,1]           // 00000000D640: D2A24091 00032F96
	v_cvt_pk_fp8_f32 v146, v152, v153                          // 00000000D648: D2A20092 00033398
	v_cvt_pk_fp8_f32 v146, v154, v155 op_sel:[0,0,1]           // 00000000D650: D2A24092 0003379A
	v_cvt_pk_fp8_f32 v147, v156, v157                          // 00000000D658: D2A20093 00033B9C
	v_cvt_pk_fp8_f32 v147, v158, v159 op_sel:[0,0,1]           // 00000000D660: D2A24093 00033F9E
	ds_write_b32 v13, v144 offset:29184                        // 00000000D668: D81A7200 0000900D
	ds_write_b32 v13, v145 offset:30208                        // 00000000D670: D81A7600 0000910D
	ds_write_b32 v13, v146 offset:31232                        // 00000000D678: D81A7A00 0000920D
	ds_write_b32 v13, v147 offset:32256                        // 00000000D680: D81A7E00 0000930D
	v_add_f32_e32 v232, v232, v200                             // 00000000D688: 03D191E8
	v_add_f32_e32 v233, v233, v201                             // 00000000D68C: 03D393E9
	v_add_f32_e32 v234, v234, v202                             // 00000000D690: 03D595EA
	v_add_f32_e32 v235, v235, v203                             // 00000000D694: 03D797EB
	v_add_f32_e32 v236, v236, v204                             // 00000000D698: 03D999EC
	v_add_f32_e32 v237, v237, v205                             // 00000000D69C: 03DB9BED
	v_add_f32_e32 v238, v238, v206                             // 00000000D6A0: 03DD9DEE
	v_add_f32_e32 v239, v239, v207                             // 00000000D6A4: 03DF9FEF
	v_rcp_f32_e32 v59, v62                                     // 00000000D6A8: 7E76453E
	s_waitcnt lgkmcnt(0)                                       // 00000000D6AC: BF8CC07F
	s_barrier                                                  // 00000000D6B0: BF8A0000
	ds_read_b64 v[144:145], v12 offset:29184                   // 00000000D6B4: D8EC7200 9000000C
	ds_read_b64 v[146:147], v12 offset:29312                   // 00000000D6BC: D8EC7280 9200000C
	ds_read_b64 v[148:149], v12 offset:30208                   // 00000000D6C4: D8EC7600 9400000C
	ds_read_b64 v[150:151], v12 offset:30336                   // 00000000D6CC: D8EC7680 9600000C
	ds_read_b64 v[152:153], v12 offset:31232                   // 00000000D6D4: D8EC7A00 9800000C
	ds_read_b64 v[154:155], v12 offset:31360                   // 00000000D6DC: D8EC7A80 9A00000C
	ds_read_b64 v[156:157], v12 offset:32256                   // 00000000D6E4: D8EC7E00 9C00000C
	ds_read_b64 v[158:159], v12 offset:32384                   // 00000000D6EC: D8EC7E80 9E00000C
	s_waitcnt vmcnt(15)                                        // 00000000D6F4: BF8C0F7F
	v_mfma_f32_16x16x32_fp8_fp8 v[192:195], a[96:97], v[128:129], 0// 00000000D6F8: D3F300C0 0A030160
	v_mfma_f32_16x16x32_fp8_fp8 v[192:195], a[98:99], v[130:131], v[192:195]// 00000000D700: D3F300C0 0F030562
	buffer_load_dwordx4 a[80:83], v33, s[20:23], 0 offen offset:1024// 00000000D708: E05C1400 80855021
	v_mfma_f32_16x16x32_fp8_fp8 v[192:195], a[100:101], v[132:133], v[192:195]// 00000000D710: D3F300C0 0F030964
	v_mfma_f32_16x16x32_fp8_fp8 v[192:195], a[102:103], v[134:135], v[192:195]// 00000000D718: D3F300C0 0F030D66
	v_mfma_f32_16x16x32_fp8_fp8 v[192:195], a[104:105], v[136:137], v[192:195]// 00000000D720: D3F300C0 0F031168
	v_mfma_f32_16x16x32_fp8_fp8 v[192:195], a[106:107], v[138:139], v[192:195]// 00000000D728: D3F300C0 0F03156A
	buffer_load_dwordx4 a[84:87], v34, s[20:23], 0 offen offset:1024// 00000000D730: E05C1400 80855422
	v_mfma_f32_16x16x32_fp8_fp8 v[192:195], a[108:109], v[140:141], v[192:195]// 00000000D738: D3F300C0 0F03196C
	v_mfma_f32_16x16x32_fp8_fp8 v[192:195], a[110:111], v[142:143], v[192:195]// 00000000D740: D3F300C0 0F031D6E
	v_mfma_f32_16x16x32_fp8_fp8 v[196:199], a[112:113], v[128:129], 0// 00000000D748: D3F300C4 0A030170
	v_mfma_f32_16x16x32_fp8_fp8 v[196:199], a[114:115], v[130:131], v[196:199]// 00000000D750: D3F300C4 0F130572
	buffer_load_dwordx4 a[88:91], v35, s[20:23], 0 offen offset:1024// 00000000D758: E05C1400 80855823
	v_mfma_f32_16x16x32_fp8_fp8 v[196:199], a[116:117], v[132:133], v[196:199]// 00000000D760: D3F300C4 0F130974
	v_mfma_f32_16x16x32_fp8_fp8 v[196:199], a[118:119], v[134:135], v[196:199]// 00000000D768: D3F300C4 0F130D76
	v_mfma_f32_16x16x32_fp8_fp8 v[196:199], a[120:121], v[136:137], v[196:199]// 00000000D770: D3F300C4 0F131178
	v_mfma_f32_16x16x32_fp8_fp8 v[196:199], a[122:123], v[138:139], v[196:199]// 00000000D778: D3F300C4 0F13157A
	buffer_load_dwordx4 a[92:95], v36, s[20:23], 0 offen offset:1024// 00000000D780: E05C1400 80855C24
	v_mfma_f32_16x16x32_fp8_fp8 v[196:199], a[124:125], v[140:141], v[196:199]// 00000000D788: D3F300C4 0F13197C
	s_lshr_b32 s57, s70, 4                                     // 00000000D790: 8F398446
	s_add_u32 s57, 48, s57                                     // 00000000D794: 803939B0
	v_mfma_f32_16x16x32_fp8_fp8 v[196:199], a[126:127], v[142:143], v[196:199]// 00000000D798: D3F300C4 0F131D7E
	s_cmp_ge_u32 s57, s73                                      // 00000000D7A0: BF094939
	s_cselect_b32 s56, 0, s56                                  // 00000000D7A4: 85383880
	v_mfma_f32_16x16x32_fp8_fp8 v[200:203], a[96:97], v[144:145], 0// 00000000D7A8: D3F300C8 0A032160
	v_mfma_f32_16x16x32_fp8_fp8 v[200:203], a[98:99], v[146:147], v[200:203]// 00000000D7B0: D3F300C8 0F232562
	v_mfma_f32_16x16x32_fp8_fp8 v[200:203], a[100:101], v[148:149], v[200:203]// 00000000D7B8: D3F300C8 0F232964
	v_mfma_f32_16x16x32_fp8_fp8 v[200:203], a[102:103], v[150:151], v[200:203]// 00000000D7C0: D3F300C8 0F232D66
	v_mfma_f32_16x16x32_fp8_fp8 v[200:203], a[104:105], v[152:153], v[200:203]// 00000000D7C8: D3F300C8 0F233168
	v_mfma_f32_16x16x32_fp8_fp8 v[200:203], a[106:107], v[154:155], v[200:203]// 00000000D7D0: D3F300C8 0F23356A
	v_mfma_f32_16x16x32_fp8_fp8 v[200:203], a[108:109], v[156:157], v[200:203]// 00000000D7D8: D3F300C8 0F23396C
	v_mfma_f32_16x16x32_fp8_fp8 v[200:203], a[110:111], v[158:159], v[200:203]// 00000000D7E0: D3F300C8 0F233D6E
	v_mfma_f32_16x16x32_fp8_fp8 v[204:207], a[112:113], v[144:145], 0// 00000000D7E8: D3F300CC 0A032170
	v_mfma_f32_16x16x32_fp8_fp8 v[204:207], a[114:115], v[146:147], v[204:207]// 00000000D7F0: D3F300CC 0F332572
	v_mfma_f32_16x16x32_fp8_fp8 v[204:207], a[116:117], v[148:149], v[204:207]// 00000000D7F8: D3F300CC 0F332974
	v_mfma_f32_16x16x32_fp8_fp8 v[204:207], a[118:119], v[150:151], v[204:207]// 00000000D800: D3F300CC 0F332D76
	v_mfma_f32_16x16x32_fp8_fp8 v[204:207], a[120:121], v[152:153], v[204:207]// 00000000D808: D3F300CC 0F333178
	v_mfma_f32_16x16x32_fp8_fp8 v[204:207], a[122:123], v[154:155], v[204:207]// 00000000D810: D3F300CC 0F33357A
	v_mfma_f32_16x16x32_fp8_fp8 v[204:207], a[124:125], v[156:157], v[204:207]// 00000000D818: D3F300CC 0F33397C
	v_mfma_f32_16x16x32_fp8_fp8 v[204:207], a[126:127], v[158:159], v[204:207]// 00000000D820: D3F300CC 0F333D7E
	v_add_u32_e32 v1, s56, v1                                  // 00000000D828: 68020238
	s_addk_i32 s70, 0x100                                      // 00000000D82C: B7460100
	s_cmp_lt_i32 s70, s71                                      // 00000000D830: BF044746
	s_cbranch_scc0 label_2D8F                                  // 00000000D834: BF840001
	s_branch label_233C                                        // 00000000D838: BF82F5AD

000000000000d83c <label_2D8F>:
	s_nop 0                                                    // 00000000D83C: BF800000
	s_nop 0                                                    // 00000000D840: BF800000
	s_branch label_37E5                                        // 00000000D844: BF820A53

000000000000d848 <label_2D92>:
	s_waitcnt vmcnt(8) lgkmcnt(0)                              // 00000000D848: BF8C0078
	v_mul_u32_u24_dpp v41, v20, v68 row_newbcast:0 row_mask:0xf bank_mask:0xf// 00000000D84C: 105288FA FF015014
	v_mul_u32_u24_dpp v42, v20, v68 row_newbcast:4 row_mask:0xf bank_mask:0xf// 00000000D854: 105488FA FF015414
	v_mul_u32_u24_dpp v43, v20, v68 row_newbcast:8 row_mask:0xf bank_mask:0xf// 00000000D85C: 105688FA FF015814
	v_mul_u32_u24_dpp v44, v20, v68 row_newbcast:12 row_mask:0xf bank_mask:0xf// 00000000D864: 105888FA FF015C14
	v_add_u32_e32 v29, v41, v6                                 // 00000000D86C: 683A0D29
	v_add_u32_e32 v30, v42, v6                                 // 00000000D870: 683C0D2A
	v_add_u32_e32 v31, v43, v6                                 // 00000000D874: 683E0D2B
	v_add_u32_e32 v32, v44, v6                                 // 00000000D878: 68400D2C
	v_mul_u32_u24_dpp v41, v20, v78 quad_perm:[0,0,0,0] row_mask:0xf bank_mask:0xf// 00000000D87C: 10529CFA FF000014
	v_add_u32_e32 v3, v41, v74                                 // 00000000D884: 68069529
	v_mul_u32_u24_dpp v41, v20, v78 quad_perm:[0,0,0,0] row_mask:0xf bank_mask:0xf// 00000000D888: 10529CFA FF000014
	v_add_u32_e32 v71, v41, v75                                // 00000000D890: 688E9729
	v_mfma_f32_16x16x32_fp8_fp8 v[128:131], a[0:1], v[96:97], 0// 00000000D894: D3F30080 0A02C100
	buffer_load_dwordx4 a[32:35], v29, s[16:19], 0 offen       // 00000000D89C: E05C1000 8084201D
	v_mfma_f32_16x16x32_fp8_fp8 v[128:131], a[2:3], v[98:99], v[128:131]// 00000000D8A4: D3F30080 0E02C502
	v_mfma_f32_16x16x32_fp8_fp8 v[128:131], a[4:5], v[100:101], v[128:131]// 00000000D8AC: D3F30080 0E02C904
	buffer_load_dword v19, v1, s[24:27], 0 offen               // 00000000D8B4: E0501000 80061301
	v_mfma_f32_16x16x32_fp8_fp8 v[128:131], a[6:7], v[102:103], v[128:131]// 00000000D8BC: D3F30080 0E02CD06
	v_mfma_f32_16x16x32_fp8_fp8 v[132:135], a[8:9], v[96:97], 0// 00000000D8C4: D3F30084 0A02C108
	buffer_load_dwordx4 a[36:39], v29, s[16:19], 0 offen offset:1024// 00000000D8CC: E05C1400 8084241D
	v_mfma_f32_16x16x32_fp8_fp8 v[132:135], a[10:11], v[98:99], v[132:135]// 00000000D8D4: D3F30084 0E12C50A
	v_mfma_f32_16x16x32_fp8_fp8 v[132:135], a[12:13], v[100:101], v[132:135]// 00000000D8DC: D3F30084 0E12C90C
	v_mfma_f32_16x16x32_fp8_fp8 v[132:135], a[14:15], v[102:103], v[132:135]// 00000000D8E4: D3F30084 0E12CD0E
	v_mfma_f32_16x16x32_fp8_fp8 v[136:139], a[16:17], v[96:97], 0// 00000000D8EC: D3F30088 0A02C110
	buffer_load_dwordx4 a[40:43], v30, s[16:19], 0 offen       // 00000000D8F4: E05C1000 8084281E
	v_mfma_f32_16x16x32_fp8_fp8 v[136:139], a[18:19], v[98:99], v[136:139]// 00000000D8FC: D3F30088 0E22C512
	v_mfma_f32_16x16x32_fp8_fp8 v[136:139], a[20:21], v[100:101], v[136:139]// 00000000D904: D3F30088 0E22C914
	v_mfma_f32_16x16x32_fp8_fp8 v[136:139], a[22:23], v[102:103], v[136:139]// 00000000D90C: D3F30088 0E22CD16
	v_mfma_f32_16x16x32_fp8_fp8 v[140:143], a[24:25], v[96:97], 0// 00000000D914: D3F3008C 0A02C118
	buffer_load_dwordx4 a[44:47], v30, s[16:19], 0 offen offset:1024// 00000000D91C: E05C1400 80842C1E
	v_mfma_f32_16x16x32_fp8_fp8 v[140:143], a[26:27], v[98:99], v[140:143]// 00000000D924: D3F3008C 0E32C51A
	v_mfma_f32_16x16x32_fp8_fp8 v[140:143], a[28:29], v[100:101], v[140:143]// 00000000D92C: D3F3008C 0E32C91C
	v_mfma_f32_16x16x32_fp8_fp8 v[140:143], a[30:31], v[102:103], v[140:143]// 00000000D934: D3F3008C 0E32CD1E
	v_mfma_f32_16x16x32_fp8_fp8 v[144:147], a[0:1], v[104:105], 0// 00000000D93C: D3F30090 0A02D100
	v_mfma_f32_16x16x32_fp8_fp8 v[144:147], a[2:3], v[106:107], v[144:147]// 00000000D944: D3F30090 0E42D502
	v_mfma_f32_16x16x32_fp8_fp8 v[144:147], a[4:5], v[108:109], v[144:147]// 00000000D94C: D3F30090 0E42D904
	v_mfma_f32_16x16x32_fp8_fp8 v[144:147], a[6:7], v[110:111], v[144:147]// 00000000D954: D3F30090 0E42DD06
	v_mfma_f32_16x16x32_fp8_fp8 v[148:151], a[8:9], v[104:105], 0// 00000000D95C: D3F30094 0A02D108
	v_mfma_f32_16x16x32_fp8_fp8 v[148:151], a[10:11], v[106:107], v[148:151]// 00000000D964: D3F30094 0E52D50A
	v_mfma_f32_16x16x32_fp8_fp8 v[148:151], a[12:13], v[108:109], v[148:151]// 00000000D96C: D3F30094 0E52D90C
	v_mfma_f32_16x16x32_fp8_fp8 v[148:151], a[14:15], v[110:111], v[148:151]// 00000000D974: D3F30094 0E52DD0E
	v_mfma_f32_16x16x32_fp8_fp8 v[152:155], a[16:17], v[104:105], 0// 00000000D97C: D3F30098 0A02D110
	v_mfma_f32_16x16x32_fp8_fp8 v[152:155], a[18:19], v[106:107], v[152:155]// 00000000D984: D3F30098 0E62D512
	v_mfma_f32_16x16x32_fp8_fp8 v[152:155], a[20:21], v[108:109], v[152:155]// 00000000D98C: D3F30098 0E62D914
	v_mfma_f32_16x16x32_fp8_fp8 v[152:155], a[22:23], v[110:111], v[152:155]// 00000000D994: D3F30098 0E62DD16
	v_mfma_f32_16x16x32_fp8_fp8 v[156:159], a[24:25], v[104:105], 0// 00000000D99C: D3F3009C 0A02D118
	v_mfma_f32_16x16x32_fp8_fp8 v[156:159], a[26:27], v[106:107], v[156:159]// 00000000D9A4: D3F3009C 0E72D51A
	v_mfma_f32_16x16x32_fp8_fp8 v[156:159], a[28:29], v[108:109], v[156:159]// 00000000D9AC: D3F3009C 0E72D91C
	v_mfma_f32_16x16x32_fp8_fp8 v[156:159], a[30:31], v[110:111], v[156:159]// 00000000D9B4: D3F3009C 0E72DD1E
	buffer_load_dword v53, v3, s[32:35], 0 offen               // 00000000D9BC: E0501000 80083503
	v_mov_b32_dpp v41, v52 row_shr:4 row_mask:0xf bank_mask:0xf// 00000000D9C4: 7E5202FA FF011434
	v_mov_b32_dpp v42, v52 row_shl:4 row_mask:0xf bank_mask:0xf// 00000000D9CC: 7E5402FA FF010434
	v_cndmask_b32_e64 v248, v52, v41, s[44:45]                 // 00000000D9D4: D10000F8 00B25334
	v_cndmask_b32_e64 v249, v42, v52, s[44:45]                 // 00000000D9DC: D10000F9 00B2692A
	v_mov_b32_dpp v41, v248 row_shr:8 row_mask:0xf bank_mask:0xf// 00000000D9E4: 7E5202FA FF0118F8
	v_mov_b32_dpp v42, v248 row_shl:8 row_mask:0xf bank_mask:0xf// 00000000D9EC: 7E5402FA FF0108F8
	v_mov_b32_dpp v43, v249 row_shr:8 row_mask:0xf bank_mask:0xf// 00000000D9F4: 7E5602FA FF0118F9
	v_mov_b32_dpp v44, v249 row_shl:8 row_mask:0xf bank_mask:0xf// 00000000D9FC: 7E5802FA FF0108F9
	v_mov_b32_e32 v45, v248                                    // 00000000DA04: 7E5A03F8
	v_mov_b32_e32 v46, v249                                    // 00000000DA08: 7E5C03F9
	v_cndmask_b32_e64 v248, v45, v41, s[42:43]                 // 00000000DA0C: D10000F8 00AA532D
	v_cndmask_b32_e64 v250, v45, v42, s[78:79]                 // 00000000DA14: D10000FA 013A552D
	v_cndmask_b32_e64 v249, v46, v43, s[42:43]                 // 00000000DA1C: D10000F9 00AA572E
	v_cndmask_b32_e64 v251, v46, v44, s[78:79]                 // 00000000DA24: D10000FB 013A592E
	v_mov_b32_dpp v41, v72 row_shr:4 row_mask:0xf bank_mask:0xf// 00000000DA2C: 7E5202FA FF011448
	v_mov_b32_dpp v42, v72 row_shl:4 row_mask:0xf bank_mask:0xf// 00000000DA34: 7E5402FA FF010448
	v_cndmask_b32_e64 v252, v72, v41, s[44:45]                 // 00000000DA3C: D10000FC 00B25348
	v_cndmask_b32_e64 v253, v42, v72, s[44:45]                 // 00000000DA44: D10000FD 00B2912A
	v_mov_b32_dpp v41, v252 row_shr:8 row_mask:0xf bank_mask:0xf// 00000000DA4C: 7E5202FA FF0118FC
	v_mov_b32_dpp v42, v252 row_shl:8 row_mask:0xf bank_mask:0xf// 00000000DA54: 7E5402FA FF0108FC
	v_mov_b32_dpp v43, v253 row_shr:8 row_mask:0xf bank_mask:0xf// 00000000DA5C: 7E5602FA FF0118FD
	v_mov_b32_dpp v44, v253 row_shl:8 row_mask:0xf bank_mask:0xf// 00000000DA64: 7E5802FA FF0108FD
	v_mov_b32_e32 v45, v252                                    // 00000000DA6C: 7E5A03FC
	v_mov_b32_e32 v46, v253                                    // 00000000DA70: 7E5C03FD
	v_cndmask_b32_e64 v252, v45, v41, s[42:43]                 // 00000000DA74: D10000FC 00AA532D
	v_cndmask_b32_e64 v254, v45, v42, s[78:79]                 // 00000000DA7C: D10000FE 013A552D
	v_cndmask_b32_e64 v253, v46, v43, s[42:43]                 // 00000000DA84: D10000FD 00AA572E
	v_cndmask_b32_e64 v255, v46, v44, s[78:79]                 // 00000000DA8C: D10000FF 013A592E
	buffer_load_dword v73, v71, s[36:39], 0 offen              // 00000000DA94: E0501000 80094947
	v_mul_f32_e32 v128, v54, v128                              // 00000000DA9C: 0B010136
	v_mul_f32_e32 v129, v54, v129                              // 00000000DAA0: 0B030336
	v_mul_f32_e32 v130, v54, v130                              // 00000000DAA4: 0B050536
	v_mul_f32_e32 v131, v54, v131                              // 00000000DAA8: 0B070736
	v_mul_f32_e32 v132, v54, v132                              // 00000000DAAC: 0B090936
	v_mul_f32_e32 v133, v54, v133                              // 00000000DAB0: 0B0B0B36
	v_mul_f32_e32 v134, v54, v134                              // 00000000DAB4: 0B0D0D36
	v_mul_f32_e32 v135, v54, v135                              // 00000000DAB8: 0B0F0F36
	v_mul_f32_e32 v136, v54, v136                              // 00000000DABC: 0B111136
	v_mul_f32_e32 v137, v54, v137                              // 00000000DAC0: 0B131336
	v_mul_f32_e32 v138, v54, v138                              // 00000000DAC4: 0B151536
	v_mul_f32_e32 v139, v54, v139                              // 00000000DAC8: 0B171736
	v_mul_f32_e32 v140, v54, v140                              // 00000000DACC: 0B191936
	v_mul_f32_e32 v141, v54, v141                              // 00000000DAD0: 0B1B1B36
	v_mul_f32_e32 v142, v54, v142                              // 00000000DAD4: 0B1D1D36
	v_mul_f32_e32 v143, v54, v143                              // 00000000DAD8: 0B1F1F36
	buffer_load_dwordx4 a[48:51], v31, s[16:19], 0 offen       // 00000000DADC: E05C1000 8084301F
	v_mul_f32_dpp v128, v248, v128 quad_perm:[0,0,0,0] row_mask:0xf bank_mask:0xf// 00000000DAE4: 0B0100FA FF0000F8
	v_mul_f32_dpp v129, v248, v129 quad_perm:[1,1,1,1] row_mask:0xf bank_mask:0xf// 00000000DAEC: 0B0302FA FF0055F8
	v_mul_f32_dpp v130, v248, v130 quad_perm:[2,2,2,2] row_mask:0xf bank_mask:0xf// 00000000DAF4: 0B0504FA FF00AAF8
	v_mul_f32_dpp v131, v248, v131 quad_perm:[3,3,3,3] row_mask:0xf bank_mask:0xf// 00000000DAFC: 0B0706FA FF00FFF8
	v_mul_f32_dpp v132, v249, v132 quad_perm:[0,0,0,0] row_mask:0xf bank_mask:0xf// 00000000DB04: 0B0908FA FF0000F9
	v_mul_f32_dpp v133, v249, v133 quad_perm:[1,1,1,1] row_mask:0xf bank_mask:0xf// 00000000DB0C: 0B0B0AFA FF0055F9
	v_mul_f32_dpp v134, v249, v134 quad_perm:[2,2,2,2] row_mask:0xf bank_mask:0xf// 00000000DB14: 0B0D0CFA FF00AAF9
	v_mul_f32_dpp v135, v249, v135 quad_perm:[3,3,3,3] row_mask:0xf bank_mask:0xf// 00000000DB1C: 0B0F0EFA FF00FFF9
	v_mul_f32_dpp v136, v250, v136 quad_perm:[0,0,0,0] row_mask:0xf bank_mask:0xf// 00000000DB24: 0B1110FA FF0000FA
	v_mul_f32_dpp v137, v250, v137 quad_perm:[1,1,1,1] row_mask:0xf bank_mask:0xf// 00000000DB2C: 0B1312FA FF0055FA
	v_mul_f32_dpp v138, v250, v138 quad_perm:[2,2,2,2] row_mask:0xf bank_mask:0xf// 00000000DB34: 0B1514FA FF00AAFA
	v_mul_f32_dpp v139, v250, v139 quad_perm:[3,3,3,3] row_mask:0xf bank_mask:0xf// 00000000DB3C: 0B1716FA FF00FFFA
	v_mul_f32_dpp v140, v251, v140 quad_perm:[0,0,0,0] row_mask:0xf bank_mask:0xf// 00000000DB44: 0B1918FA FF0000FB
	v_mul_f32_dpp v141, v251, v141 quad_perm:[1,1,1,1] row_mask:0xf bank_mask:0xf// 00000000DB4C: 0B1B1AFA FF0055FB
	v_mul_f32_dpp v142, v251, v142 quad_perm:[2,2,2,2] row_mask:0xf bank_mask:0xf// 00000000DB54: 0B1D1CFA FF00AAFB
	v_mul_f32_dpp v143, v251, v143 quad_perm:[3,3,3,3] row_mask:0xf bank_mask:0xf// 00000000DB5C: 0B1F1EFA FF00FFFB
	buffer_load_dwordx4 a[52:55], v31, s[16:19], 0 offen offset:1024// 00000000DB64: E05C1400 8084341F
	s_cmp_le_i32 s90, s89                                      // 00000000DB6C: BF05595A
	s_cbranch_scc1 label_2ED0                                  // 00000000DB70: BF850073
	v_mov_b32_e32 v69, 0xff800000                              // 00000000DB74: 7E8A02FF FF800000
	s_mov_b32 s60, s90                                         // 00000000DB7C: BEBC005A
	s_add_u32 s61, s89, 0xff                                   // 00000000DB80: 803DFF59 000000FF
	v_mov_b32_e32 v41, s61                                     // 00000000DB88: 7E52023D
	v_lshrrev_b32_e32 v240, 4, v0                              // 00000000DB8C: 21E00084
	v_mul_i32_i24_e32 v240, 4, v240                            // 00000000DB90: 0DE1E084
	v_add_u32_e32 v240, s60, v240                              // 00000000DB94: 69E1E03C
	v_and_b32_e32 v42, 15, v0                                  // 00000000DB98: 2654008F
	v_lshrrev_b32_e32 v42, 3, v42                              // 00000000DB9C: 20545483
	s_mov_b32 s61, 0                                           // 00000000DBA0: BEBD0080
	s_mul_i32 s60, 16, s7                                      // 00000000DBA4: 923C0790
	v_add_u32_e32 v42, s61, v42                                // 00000000DBA8: 6854543D
	v_sub_u32_e32 v240, v240, v42                              // 00000000DBAC: 6BE055F0
	v_add_u32_e32 v240, s60, v240                              // 00000000DBB0: 69E1E03C
	v_add_u32_e32 v241, 1, v240                                // 00000000DBB4: 69E3E081
	v_add_u32_e32 v242, 2, v240                                // 00000000DBB8: 69E5E082
	v_add_u32_e32 v243, 3, v240                                // 00000000DBBC: 69E7E083
	v_cmp_le_u32_e64 s[40:41], v240, v41                       // 00000000DBC0: D0CB0028 000253F0
	v_add_u32_e32 v240, 64, v240                               // 00000000DBC8: 69E1E0C0
	s_nop 0                                                    // 00000000DBCC: BF800000
	v_cndmask_b32_e64 v128, v69, v128, s[40:41]                // 00000000DBD0: D1000080 00A30145
	v_cmp_le_u32_e64 s[40:41], v241, v41                       // 00000000DBD8: D0CB0028 000253F1
	v_add_u32_e32 v241, 64, v241                               // 00000000DBE0: 69E3E2C0
	s_nop 0                                                    // 00000000DBE4: BF800000
	v_cndmask_b32_e64 v129, v69, v129, s[40:41]                // 00000000DBE8: D1000081 00A30345
	v_cmp_le_u32_e64 s[40:41], v242, v41                       // 00000000DBF0: D0CB0028 000253F2
	v_add_u32_e32 v242, 64, v242                               // 00000000DBF8: 69E5E4C0
	s_nop 0                                                    // 00000000DBFC: BF800000
	v_cndmask_b32_e64 v130, v69, v130, s[40:41]                // 00000000DC00: D1000082 00A30545
	v_cmp_le_u32_e64 s[40:41], v243, v41                       // 00000000DC08: D0CB0028 000253F3
	v_add_u32_e32 v243, 64, v243                               // 00000000DC10: 69E7E6C0
	s_nop 0                                                    // 00000000DC14: BF800000
	v_cndmask_b32_e64 v131, v69, v131, s[40:41]                // 00000000DC18: D1000083 00A30745
	v_cmp_le_u32_e64 s[40:41], v240, v41                       // 00000000DC20: D0CB0028 000253F0
	v_add_u32_e32 v240, 64, v240                               // 00000000DC28: 69E1E0C0
	s_nop 0                                                    // 00000000DC2C: BF800000
	v_cndmask_b32_e64 v132, v69, v132, s[40:41]                // 00000000DC30: D1000084 00A30945
	v_cmp_le_u32_e64 s[40:41], v241, v41                       // 00000000DC38: D0CB0028 000253F1
	v_add_u32_e32 v241, 64, v241                               // 00000000DC40: 69E3E2C0
	s_nop 0                                                    // 00000000DC44: BF800000
	v_cndmask_b32_e64 v133, v69, v133, s[40:41]                // 00000000DC48: D1000085 00A30B45
	v_cmp_le_u32_e64 s[40:41], v242, v41                       // 00000000DC50: D0CB0028 000253F2
	v_add_u32_e32 v242, 64, v242                               // 00000000DC58: 69E5E4C0
	s_nop 0                                                    // 00000000DC5C: BF800000
	v_cndmask_b32_e64 v134, v69, v134, s[40:41]                // 00000000DC60: D1000086 00A30D45
	v_cmp_le_u32_e64 s[40:41], v243, v41                       // 00000000DC68: D0CB0028 000253F3
	v_add_u32_e32 v243, 64, v243                               // 00000000DC70: 69E7E6C0
	s_nop 0                                                    // 00000000DC74: BF800000
	v_cndmask_b32_e64 v135, v69, v135, s[40:41]                // 00000000DC78: D1000087 00A30F45
	v_cmp_le_u32_e64 s[40:41], v240, v41                       // 00000000DC80: D0CB0028 000253F0
	v_add_u32_e32 v240, 64, v240                               // 00000000DC88: 69E1E0C0
	s_nop 0                                                    // 00000000DC8C: BF800000
	v_cndmask_b32_e64 v136, v69, v136, s[40:41]                // 00000000DC90: D1000088 00A31145
	v_cmp_le_u32_e64 s[40:41], v241, v41                       // 00000000DC98: D0CB0028 000253F1
	v_add_u32_e32 v241, 64, v241                               // 00000000DCA0: 69E3E2C0
	s_nop 0                                                    // 00000000DCA4: BF800000
	v_cndmask_b32_e64 v137, v69, v137, s[40:41]                // 00000000DCA8: D1000089 00A31345
	v_cmp_le_u32_e64 s[40:41], v242, v41                       // 00000000DCB0: D0CB0028 000253F2
	v_add_u32_e32 v242, 64, v242                               // 00000000DCB8: 69E5E4C0
	s_nop 0                                                    // 00000000DCBC: BF800000
	v_cndmask_b32_e64 v138, v69, v138, s[40:41]                // 00000000DCC0: D100008A 00A31545
	v_cmp_le_u32_e64 s[40:41], v243, v41                       // 00000000DCC8: D0CB0028 000253F3
	v_add_u32_e32 v243, 64, v243                               // 00000000DCD0: 69E7E6C0
	s_nop 0                                                    // 00000000DCD4: BF800000
	v_cndmask_b32_e64 v139, v69, v139, s[40:41]                // 00000000DCD8: D100008B 00A31745
	v_cmp_le_u32_e64 s[40:41], v240, v41                       // 00000000DCE0: D0CB0028 000253F0
	v_add_u32_e32 v240, 64, v240                               // 00000000DCE8: 69E1E0C0
	s_nop 0                                                    // 00000000DCEC: BF800000
	v_cndmask_b32_e64 v140, v69, v140, s[40:41]                // 00000000DCF0: D100008C 00A31945
	v_cmp_le_u32_e64 s[40:41], v241, v41                       // 00000000DCF8: D0CB0028 000253F1
	v_add_u32_e32 v241, 64, v241                               // 00000000DD00: 69E3E2C0
	s_nop 0                                                    // 00000000DD04: BF800000
	v_cndmask_b32_e64 v141, v69, v141, s[40:41]                // 00000000DD08: D100008D 00A31B45
	v_cmp_le_u32_e64 s[40:41], v242, v41                       // 00000000DD10: D0CB0028 000253F2
	v_add_u32_e32 v242, 64, v242                               // 00000000DD18: 69E5E4C0
	s_nop 0                                                    // 00000000DD1C: BF800000
	v_cndmask_b32_e64 v142, v69, v142, s[40:41]                // 00000000DD20: D100008E 00A31D45
	v_cmp_le_u32_e64 s[40:41], v243, v41                       // 00000000DD28: D0CB0028 000253F3
	v_add_u32_e32 v243, 64, v243                               // 00000000DD30: 69E7E6C0
	s_nop 0                                                    // 00000000DD34: BF800000
	v_cndmask_b32_e64 v143, v69, v143, s[40:41]                // 00000000DD38: D100008F 00A31F45

000000000000dd40 <label_2ED0>:
	v_mov_b32_e32 v62, v128                                    // 00000000DD40: 7E7C0380
	v_max3_f32 v62, v128, v129, v62                            // 00000000DD44: D1D3003E 04FB0380
	v_max3_f32 v62, v130, v131, v62                            // 00000000DD4C: D1D3003E 04FB0782
	v_max3_f32 v62, v132, v133, v62                            // 00000000DD54: D1D3003E 04FB0B84
	v_max3_f32 v62, v134, v135, v62                            // 00000000DD5C: D1D3003E 04FB0F86
	v_max3_f32 v62, v136, v137, v62                            // 00000000DD64: D1D3003E 04FB1388
	v_max3_f32 v62, v138, v139, v62                            // 00000000DD6C: D1D3003E 04FB178A
	v_max3_f32 v62, v140, v141, v62                            // 00000000DD74: D1D3003E 04FB1B8C
	v_max3_f32 v62, v142, v143, v62                            // 00000000DD7C: D1D3003E 04FB1F8E
	ds_write_b32 v11, v62 offset:16896                         // 00000000DD84: D81A4200 00003E0B
	buffer_load_dwordx4 a[56:59], v32, s[16:19], 0 offen       // 00000000DD8C: E05C1000 80843820
	v_mul_u32_u24_dpp v41, v20, v68 row_newbcast:1 row_mask:0xf bank_mask:0xf// 00000000DD94: 105288FA FF015114
	v_mul_u32_u24_dpp v42, v20, v68 row_newbcast:5 row_mask:0xf bank_mask:0xf// 00000000DD9C: 105488FA FF015514
	v_mul_u32_u24_dpp v43, v20, v68 row_newbcast:9 row_mask:0xf bank_mask:0xf// 00000000DDA4: 105688FA FF015914
	v_mul_u32_u24_dpp v44, v20, v68 row_newbcast:13 row_mask:0xf bank_mask:0xf// 00000000DDAC: 105888FA FF015D14
	v_add_u32_e32 v37, v41, v7                                 // 00000000DDB4: 684A0F29
	v_add_u32_e32 v38, v42, v7                                 // 00000000DDB8: 684C0F2A
	v_add_u32_e32 v39, v43, v7                                 // 00000000DDBC: 684E0F2B
	v_add_u32_e32 v40, v44, v7                                 // 00000000DDC0: 68500F2C
	v_mul_f32_e32 v224, v63, v224                              // 00000000DDC4: 0BC1C13F
	v_mul_f32_e32 v225, v63, v225                              // 00000000DDC8: 0BC3C33F
	v_mul_f32_e32 v226, v63, v226                              // 00000000DDCC: 0BC5C53F
	v_mul_f32_e32 v227, v63, v227                              // 00000000DDD0: 0BC7C73F
	v_mul_f32_e32 v228, v63, v228                              // 00000000DDD4: 0BC9C93F
	v_mul_f32_e32 v229, v63, v229                              // 00000000DDD8: 0BCBCB3F
	v_mul_f32_e32 v230, v63, v230                              // 00000000DDDC: 0BCDCD3F
	v_mul_f32_e32 v231, v63, v231                              // 00000000DDE0: 0BCFCF3F
	s_waitcnt lgkmcnt(0)                                       // 00000000DDE4: BF8CC07F
	s_barrier                                                  // 00000000DDE8: BF8A0000
	ds_read_b32 v80, v10 offset:16896                          // 00000000DDEC: D86C4200 5000000A
	ds_read_b32 v81, v10 offset:16960                          // 00000000DDF4: D86C4240 5100000A
	ds_read_b32 v82, v10 offset:17024                          // 00000000DDFC: D86C4280 5200000A
	ds_read_b32 v83, v10 offset:17088                          // 00000000DE04: D86C42C0 5300000A
	ds_read_b32 v84, v10 offset:17152                          // 00000000DE0C: D86C4300 5400000A
	ds_read_b32 v85, v10 offset:17216                          // 00000000DE14: D86C4340 5500000A
	ds_read_b32 v86, v10 offset:17280                          // 00000000DE1C: D86C4380 5600000A
	ds_read_b32 v87, v10 offset:17344                          // 00000000DE24: D86C43C0 5700000A
	ds_read_b32 v88, v10 offset:17408                          // 00000000DE2C: D86C4400 5800000A
	ds_read_b32 v89, v10 offset:17472                          // 00000000DE34: D86C4440 5900000A
	ds_read_b32 v90, v10 offset:17536                          // 00000000DE3C: D86C4480 5A00000A
	ds_read_b32 v91, v10 offset:17600                          // 00000000DE44: D86C44C0 5B00000A
	ds_read_b32 v92, v10 offset:17664                          // 00000000DE4C: D86C4500 5C00000A
	ds_read_b32 v93, v10 offset:17728                          // 00000000DE54: D86C4540 5D00000A
	ds_read_b32 v94, v10 offset:17792                          // 00000000DE5C: D86C4580 5E00000A
	ds_read_b32 v95, v10 offset:17856                          // 00000000DE64: D86C45C0 5F00000A
	buffer_load_dwordx4 a[60:63], v32, s[16:19], 0 offen offset:1024// 00000000DE6C: E05C1400 80843C20
	v_mul_f32_e32 v192, v58, v192                              // 00000000DE74: 0B81813A
	v_mul_f32_e32 v193, v58, v193                              // 00000000DE78: 0B83833A
	v_mul_f32_e32 v194, v58, v194                              // 00000000DE7C: 0B85853A
	v_mul_f32_e32 v195, v58, v195                              // 00000000DE80: 0B87873A
	v_mul_f32_e32 v196, v58, v196                              // 00000000DE84: 0B89893A
	v_mul_f32_e32 v197, v58, v197                              // 00000000DE88: 0B8B8B3A
	v_mul_f32_e32 v198, v58, v198                              // 00000000DE8C: 0B8D8D3A
	v_mul_f32_e32 v199, v58, v199                              // 00000000DE90: 0B8F8F3A
	s_waitcnt lgkmcnt(0)                                       // 00000000DE94: BF8CC07F
	v_max3_f32 v62, v80, v81, v62                              // 00000000DE98: D1D3003E 04FAA350
	v_max3_f32 v62, v82, v83, v62                              // 00000000DEA0: D1D3003E 04FAA752
	v_max3_f32 v62, v84, v85, v62                              // 00000000DEA8: D1D3003E 04FAAB54
	v_max3_f32 v62, v86, v87, v62                              // 00000000DEB0: D1D3003E 04FAAF56
	v_max3_f32 v62, v88, v89, v62                              // 00000000DEB8: D1D3003E 04FAB358
	v_max3_f32 v62, v90, v91, v62                              // 00000000DEC0: D1D3003E 04FAB75A
	v_max3_f32 v62, v92, v93, v62                              // 00000000DEC8: D1D3003E 04FABB5C
	v_max3_f32 v62, v94, v95, v62                              // 00000000DED0: D1D3003E 04FABF5E
	buffer_load_dwordx4 a[96:99], v37, s[20:23], 0 offen       // 00000000DED8: E05C1000 80856025
	v_mov_b32_e32 v41, 0xff800000                              // 00000000DEE0: 7E5202FF FF800000
	v_cmp_eq_u32_e64 s[40:41], v41, v14                        // 00000000DEE8: D0CA0028 00021D29
	s_nop 1                                                    // 00000000DEF0: BF800001
	v_max_f32_e32 v18, v62, v14                                // 00000000DEF4: 16241D3E
	v_mul_f32_e32 v67, s64, v18                                // 00000000DEF8: 0A862440
	v_fma_f32 v128, v128, s64, -v67                            // 00000000DEFC: D1CB0080 850C8180
	v_fma_f32 v129, v129, s64, -v67                            // 00000000DF04: D1CB0081 850C8181
	v_fma_f32 v130, v130, s64, -v67                            // 00000000DF0C: D1CB0082 850C8182
	v_fma_f32 v131, v131, s64, -v67                            // 00000000DF14: D1CB0083 850C8183
	v_fma_f32 v132, v132, s64, -v67                            // 00000000DF1C: D1CB0084 850C8184
	v_fma_f32 v133, v133, s64, -v67                            // 00000000DF24: D1CB0085 850C8185
	v_fma_f32 v134, v134, s64, -v67                            // 00000000DF2C: D1CB0086 850C8186
	v_fma_f32 v135, v135, s64, -v67                            // 00000000DF34: D1CB0087 850C8187
	v_fma_f32 v136, v136, s64, -v67                            // 00000000DF3C: D1CB0088 850C8188
	v_fma_f32 v137, v137, s64, -v67                            // 00000000DF44: D1CB0089 850C8189
	v_fma_f32 v138, v138, s64, -v67                            // 00000000DF4C: D1CB008A 850C818A
	v_fma_f32 v139, v139, s64, -v67                            // 00000000DF54: D1CB008B 850C818B
	v_fma_f32 v140, v140, s64, -v67                            // 00000000DF5C: D1CB008C 850C818C
	v_fma_f32 v141, v141, s64, -v67                            // 00000000DF64: D1CB008D 850C818D
	v_fma_f32 v142, v142, s64, -v67                            // 00000000DF6C: D1CB008E 850C818E
	v_fma_f32 v143, v143, s64, -v67                            // 00000000DF74: D1CB008F 850C818F
	buffer_load_dwordx4 a[100:103], v38, s[20:23], 0 offen     // 00000000DF7C: E05C1000 80856426
	v_exp_f32_e32 v128, v128                                   // 00000000DF84: 7F004180
	v_exp_f32_e32 v129, v129                                   // 00000000DF88: 7F024181
	v_exp_f32_e32 v130, v130                                   // 00000000DF8C: 7F044182
	v_exp_f32_e32 v131, v131                                   // 00000000DF90: 7F064183
	v_exp_f32_e32 v132, v132                                   // 00000000DF94: 7F084184
	v_exp_f32_e32 v133, v133                                   // 00000000DF98: 7F0A4185
	v_exp_f32_e32 v134, v134                                   // 00000000DF9C: 7F0C4186
	v_exp_f32_e32 v135, v135                                   // 00000000DFA0: 7F0E4187
	v_exp_f32_e32 v136, v136                                   // 00000000DFA4: 7F104188
	v_exp_f32_e32 v137, v137                                   // 00000000DFA8: 7F124189
	v_exp_f32_e32 v138, v138                                   // 00000000DFAC: 7F14418A
	v_exp_f32_e32 v139, v139                                   // 00000000DFB0: 7F16418B
	v_exp_f32_e32 v140, v140                                   // 00000000DFB4: 7F18418C
	v_exp_f32_e32 v141, v141                                   // 00000000DFB8: 7F1A418D
	v_exp_f32_e32 v142, v142                                   // 00000000DFBC: 7F1C418E
	v_exp_f32_e32 v143, v143                                   // 00000000DFC0: 7F1E418F
	buffer_load_dwordx4 a[104:107], v39, s[20:23], 0 offen     // 00000000DFC4: E05C1000 80856827
	v_mul_f32_dpp v240, v252, v128 quad_perm:[0,0,0,0] row_mask:0xf bank_mask:0xf// 00000000DFCC: 0BE100FA FF0000FC
	v_mul_f32_dpp v241, v252, v129 quad_perm:[1,1,1,1] row_mask:0xf bank_mask:0xf// 00000000DFD4: 0BE302FA FF0055FC
	v_mul_f32_dpp v242, v252, v130 quad_perm:[2,2,2,2] row_mask:0xf bank_mask:0xf// 00000000DFDC: 0BE504FA FF00AAFC
	v_mul_f32_dpp v243, v252, v131 quad_perm:[3,3,3,3] row_mask:0xf bank_mask:0xf// 00000000DFE4: 0BE706FA FF00FFFC
	v_mul_f32_dpp v244, v253, v132 quad_perm:[0,0,0,0] row_mask:0xf bank_mask:0xf// 00000000DFEC: 0BE908FA FF0000FD
	v_mul_f32_dpp v245, v253, v133 quad_perm:[1,1,1,1] row_mask:0xf bank_mask:0xf// 00000000DFF4: 0BEB0AFA FF0055FD
	v_mul_f32_dpp v246, v253, v134 quad_perm:[2,2,2,2] row_mask:0xf bank_mask:0xf// 00000000DFFC: 0BED0CFA FF00AAFD
	v_mul_f32_dpp v247, v253, v135 quad_perm:[3,3,3,3] row_mask:0xf bank_mask:0xf// 00000000E004: 0BEF0EFA FF00FFFD
	v_mul_f32_dpp v248, v254, v136 quad_perm:[0,0,0,0] row_mask:0xf bank_mask:0xf// 00000000E00C: 0BF110FA FF0000FE
	v_mul_f32_dpp v249, v254, v137 quad_perm:[1,1,1,1] row_mask:0xf bank_mask:0xf// 00000000E014: 0BF312FA FF0055FE
	v_mul_f32_dpp v250, v254, v138 quad_perm:[2,2,2,2] row_mask:0xf bank_mask:0xf// 00000000E01C: 0BF514FA FF00AAFE
	v_mul_f32_dpp v251, v254, v139 quad_perm:[3,3,3,3] row_mask:0xf bank_mask:0xf// 00000000E024: 0BF716FA FF00FFFE
	v_mul_f32_dpp v252, v255, v140 quad_perm:[0,0,0,0] row_mask:0xf bank_mask:0xf// 00000000E02C: 0BF918FA FF0000FF
	v_mul_f32_dpp v253, v255, v141 quad_perm:[1,1,1,1] row_mask:0xf bank_mask:0xf// 00000000E034: 0BFB1AFA FF0055FF
	v_mul_f32_dpp v254, v255, v142 quad_perm:[2,2,2,2] row_mask:0xf bank_mask:0xf// 00000000E03C: 0BFD1CFA FF00AAFF
	v_mul_f32_dpp v255, v255, v143 quad_perm:[3,3,3,3] row_mask:0xf bank_mask:0xf// 00000000E044: 0BFF1EFA FF00FFFF
	v_mov_b32_e32 v62, 0x358637bd                              // 00000000E04C: 7E7C02FF 358637BD
	v_max3_f32 v62, |v240|, |v241|, v62                        // 00000000E054: D1D3033E 04FBE3F0
	v_max3_f32 v62, |v242|, |v243|, v62                        // 00000000E05C: D1D3033E 04FBE7F2
	v_max3_f32 v62, |v244|, |v245|, v62                        // 00000000E064: D1D3033E 04FBEBF4
	v_max3_f32 v62, |v246|, |v247|, v62                        // 00000000E06C: D1D3033E 04FBEFF6
	v_max3_f32 v62, |v248|, |v249|, v62                        // 00000000E074: D1D3033E 04FBF3F8
	v_max3_f32 v62, |v250|, |v251|, v62                        // 00000000E07C: D1D3033E 04FBF7FA
	v_max3_f32 v62, |v252|, |v253|, v62                        // 00000000E084: D1D3033E 04FBFBFC
	v_max3_f32 v62, |v254|, |v255|, v62                        // 00000000E08C: D1D3033E 04FBFFFE
	buffer_load_dwordx4 a[108:111], v40, s[20:23], 0 offen     // 00000000E094: E05C1000 80856C28
	ds_write_b32 v11, v62 offset:20992                         // 00000000E09C: D81A5200 00003E0B
	v_sub_f32_e32 v63, v14, v18                                // 00000000E0A4: 047E250E
	v_cndmask_b32_e64 v63, v63, 0, s[40:41]                    // 00000000E0A8: D100003F 00A1013F
	v_mov_b32_e32 v14, v18                                     // 00000000E0B0: 7E1C0312
	v_mul_f32_e32 v63, s64, v63                                // 00000000E0B4: 0A7E7E40
	v_exp_f32_e32 v63, v63                                     // 00000000E0B8: 7E7E413F
	s_waitcnt lgkmcnt(0)                                       // 00000000E0BC: BF8CC07F
	s_barrier                                                  // 00000000E0C0: BF8A0000
	ds_read_b32 v80, v10 offset:20992                          // 00000000E0C4: D86C5200 5000000A
	ds_read_b32 v81, v10 offset:21056                          // 00000000E0CC: D86C5240 5100000A
	ds_read_b32 v82, v10 offset:21120                          // 00000000E0D4: D86C5280 5200000A
	ds_read_b32 v83, v10 offset:21184                          // 00000000E0DC: D86C52C0 5300000A
	ds_read_b32 v84, v10 offset:21248                          // 00000000E0E4: D86C5300 5400000A
	ds_read_b32 v85, v10 offset:21312                          // 00000000E0EC: D86C5340 5500000A
	ds_read_b32 v86, v10 offset:21376                          // 00000000E0F4: D86C5380 5600000A
	ds_read_b32 v87, v10 offset:21440                          // 00000000E0FC: D86C53C0 5700000A
	ds_read_b32 v88, v10 offset:21504                          // 00000000E104: D86C5400 5800000A
	ds_read_b32 v89, v10 offset:21568                          // 00000000E10C: D86C5440 5900000A
	ds_read_b32 v90, v10 offset:21632                          // 00000000E114: D86C5480 5A00000A
	ds_read_b32 v91, v10 offset:21696                          // 00000000E11C: D86C54C0 5B00000A
	ds_read_b32 v92, v10 offset:21760                          // 00000000E124: D86C5500 5C00000A
	ds_read_b32 v93, v10 offset:21824                          // 00000000E12C: D86C5540 5D00000A
	ds_read_b32 v94, v10 offset:21888                          // 00000000E134: D86C5580 5E00000A
	ds_read_b32 v95, v10 offset:21952                          // 00000000E13C: D86C55C0 5F00000A
	v_mul_f32_e32 v47, v63, v47                                // 00000000E144: 0A5E5F3F
	v_mov_b32_e32 v18, v128                                    // 00000000E148: 7E240380
	v_add_f32_e32 v18, v129, v18                               // 00000000E14C: 02242581
	v_add_f32_e32 v18, v130, v18                               // 00000000E150: 02242582
	v_add_f32_e32 v18, v131, v18                               // 00000000E154: 02242583
	v_add_f32_e32 v18, v132, v18                               // 00000000E158: 02242584
	v_add_f32_e32 v18, v133, v18                               // 00000000E15C: 02242585
	v_add_f32_e32 v18, v134, v18                               // 00000000E160: 02242586
	v_add_f32_e32 v18, v135, v18                               // 00000000E164: 02242587
	v_add_f32_e32 v18, v136, v18                               // 00000000E168: 02242588
	v_add_f32_e32 v18, v137, v18                               // 00000000E16C: 02242589
	v_add_f32_e32 v18, v138, v18                               // 00000000E170: 0224258A
	v_add_f32_e32 v18, v139, v18                               // 00000000E174: 0224258B
	v_add_f32_e32 v18, v140, v18                               // 00000000E178: 0224258C
	v_add_f32_e32 v18, v141, v18                               // 00000000E17C: 0224258D
	v_add_f32_e32 v18, v142, v18                               // 00000000E180: 0224258E
	v_add_f32_e32 v18, v143, v18                               // 00000000E184: 0224258F
	v_add_f32_e32 v47, v18, v47                                // 00000000E188: 025E5F12
	s_waitcnt lgkmcnt(0)                                       // 00000000E18C: BF8CC07F
	v_max3_f32 v62, |v80|, |v81|, v62                          // 00000000E190: D1D3033E 04FAA350
	v_max3_f32 v62, |v82|, |v83|, v62                          // 00000000E198: D1D3033E 04FAA752
	v_max3_f32 v62, |v84|, |v85|, v62                          // 00000000E1A0: D1D3033E 04FAAB54
	v_max3_f32 v62, |v86|, |v87|, v62                          // 00000000E1A8: D1D3033E 04FAAF56
	v_max3_f32 v62, |v88|, |v89|, v62                          // 00000000E1B0: D1D3033E 04FAB358
	v_max3_f32 v62, |v90|, |v91|, v62                          // 00000000E1B8: D1D3033E 04FAB75A
	v_max3_f32 v62, |v92|, |v93|, v62                          // 00000000E1C0: D1D3033E 04FABB5C
	v_max3_f32 v62, |v94|, |v95|, v62                          // 00000000E1C8: D1D3033E 04FABF5E
	s_nop 2                                                    // 00000000E1D0: BF800002
	v_rcp_f32_e32 v62, v62                                     // 00000000E1D4: 7E7C453E
	s_nop 1                                                    // 00000000E1D8: BF800001
	v_mul_f32_e32 v62, 0x43e00000, v62                         // 00000000E1DC: 0A7C7CFF 43E00000
	v_mul_f32_e32 v128, v62, v240                              // 00000000E1E4: 0B01E13E
	v_mul_f32_e32 v129, v62, v241                              // 00000000E1E8: 0B03E33E
	v_mul_f32_e32 v130, v62, v242                              // 00000000E1EC: 0B05E53E
	v_mul_f32_e32 v131, v62, v243                              // 00000000E1F0: 0B07E73E
	v_mul_f32_e32 v132, v62, v244                              // 00000000E1F4: 0B09E93E
	v_mul_f32_e32 v133, v62, v245                              // 00000000E1F8: 0B0BEB3E
	v_mul_f32_e32 v134, v62, v246                              // 00000000E1FC: 0B0DED3E
	v_mul_f32_e32 v135, v62, v247                              // 00000000E200: 0B0FEF3E
	v_mul_f32_e32 v136, v62, v248                              // 00000000E204: 0B11F13E
	v_mul_f32_e32 v137, v62, v249                              // 00000000E208: 0B13F33E
	v_mul_f32_e32 v138, v62, v250                              // 00000000E20C: 0B15F53E
	v_mul_f32_e32 v139, v62, v251                              // 00000000E210: 0B17F73E
	v_mul_f32_e32 v140, v62, v252                              // 00000000E214: 0B19F93E
	v_mul_f32_e32 v141, v62, v253                              // 00000000E218: 0B1BFB3E
	v_mul_f32_e32 v142, v62, v254                              // 00000000E21C: 0B1DFD3E
	v_mul_f32_e32 v143, v62, v255                              // 00000000E220: 0B1FFF3E
	v_cvt_pk_fp8_f32 v128, v128, v129                          // 00000000E224: D2A20080 00030380
	v_cvt_pk_fp8_f32 v128, v130, v131 op_sel:[0,0,1]           // 00000000E22C: D2A24080 00030782
	v_cvt_pk_fp8_f32 v129, v132, v133                          // 00000000E234: D2A20081 00030B84
	v_cvt_pk_fp8_f32 v129, v134, v135 op_sel:[0,0,1]           // 00000000E23C: D2A24081 00030F86
	v_cvt_pk_fp8_f32 v130, v136, v137                          // 00000000E244: D2A20082 00031388
	v_cvt_pk_fp8_f32 v130, v138, v139 op_sel:[0,0,1]           // 00000000E24C: D2A24082 0003178A
	v_cvt_pk_fp8_f32 v131, v140, v141                          // 00000000E254: D2A20083 00031B8C
	v_cvt_pk_fp8_f32 v131, v142, v143 op_sel:[0,0,1]           // 00000000E25C: D2A24083 00031F8E
	ds_write_b32 v13, v128 offset:25088                        // 00000000E264: D81A6200 0000800D
	ds_write_b32 v13, v129 offset:26112                        // 00000000E26C: D81A6600 0000810D
	ds_write_b32 v13, v130 offset:27136                        // 00000000E274: D81A6A00 0000820D
	ds_write_b32 v13, v131 offset:28160                        // 00000000E27C: D81A6E00 0000830D
	v_add_f32_e32 v224, v224, v192                             // 00000000E284: 03C181E0
	v_add_f32_e32 v225, v225, v193                             // 00000000E288: 03C383E1
	v_add_f32_e32 v226, v226, v194                             // 00000000E28C: 03C585E2
	v_add_f32_e32 v227, v227, v195                             // 00000000E290: 03C787E3
	v_add_f32_e32 v228, v228, v196                             // 00000000E294: 03C989E4
	v_add_f32_e32 v229, v229, v197                             // 00000000E298: 03CB8BE5
	v_add_f32_e32 v230, v230, v198                             // 00000000E29C: 03CD8DE6
	v_add_f32_e32 v231, v231, v199                             // 00000000E2A0: 03CF8FE7
	v_rcp_f32_e32 v58, v62                                     // 00000000E2A4: 7E74453E
	s_waitcnt lgkmcnt(0)                                       // 00000000E2A8: BF8CC07F
	s_barrier                                                  // 00000000E2AC: BF8A0000
	ds_read_b64 v[128:129], v12 offset:25088                   // 00000000E2B0: D8EC6200 8000000C
	ds_read_b64 v[130:131], v12 offset:25216                   // 00000000E2B8: D8EC6280 8200000C
	ds_read_b64 v[132:133], v12 offset:26112                   // 00000000E2C0: D8EC6600 8400000C
	ds_read_b64 v[134:135], v12 offset:26240                   // 00000000E2C8: D8EC6680 8600000C
	ds_read_b64 v[136:137], v12 offset:27136                   // 00000000E2D0: D8EC6A00 8800000C
	ds_read_b64 v[138:139], v12 offset:27264                   // 00000000E2D8: D8EC6A80 8A00000C
	ds_read_b64 v[140:141], v12 offset:28160                   // 00000000E2E0: D8EC6E00 8C00000C
	ds_read_b64 v[142:143], v12 offset:28288                   // 00000000E2E8: D8EC6E80 8E00000C
	v_mov_b32_dpp v41, v52 row_shr:4 row_mask:0xf bank_mask:0xf// 00000000E2F0: 7E5202FA FF011434
	v_mov_b32_dpp v42, v52 row_shl:4 row_mask:0xf bank_mask:0xf// 00000000E2F8: 7E5402FA FF010434
	v_cndmask_b32_e64 v248, v52, v41, s[44:45]                 // 00000000E300: D10000F8 00B25334
	v_cndmask_b32_e64 v249, v42, v52, s[44:45]                 // 00000000E308: D10000F9 00B2692A
	v_mov_b32_dpp v41, v248 row_shr:8 row_mask:0xf bank_mask:0xf// 00000000E310: 7E5202FA FF0118F8
	v_mov_b32_dpp v42, v248 row_shl:8 row_mask:0xf bank_mask:0xf// 00000000E318: 7E5402FA FF0108F8
	v_mov_b32_dpp v43, v249 row_shr:8 row_mask:0xf bank_mask:0xf// 00000000E320: 7E5602FA FF0118F9
	v_mov_b32_dpp v44, v249 row_shl:8 row_mask:0xf bank_mask:0xf// 00000000E328: 7E5802FA FF0108F9
	v_mov_b32_e32 v45, v248                                    // 00000000E330: 7E5A03F8
	v_mov_b32_e32 v46, v249                                    // 00000000E334: 7E5C03F9
	v_cndmask_b32_e64 v248, v45, v41, s[42:43]                 // 00000000E338: D10000F8 00AA532D
	v_cndmask_b32_e64 v250, v45, v42, s[78:79]                 // 00000000E340: D10000FA 013A552D
	v_cndmask_b32_e64 v249, v46, v43, s[42:43]                 // 00000000E348: D10000F9 00AA572E
	v_cndmask_b32_e64 v251, v46, v44, s[78:79]                 // 00000000E350: D10000FB 013A592E
	v_mov_b32_dpp v41, v72 row_shr:4 row_mask:0xf bank_mask:0xf// 00000000E358: 7E5202FA FF011448
	v_mov_b32_dpp v42, v72 row_shl:4 row_mask:0xf bank_mask:0xf// 00000000E360: 7E5402FA FF010448
	v_cndmask_b32_e64 v252, v72, v41, s[44:45]                 // 00000000E368: D10000FC 00B25348
	v_cndmask_b32_e64 v253, v42, v72, s[44:45]                 // 00000000E370: D10000FD 00B2912A
	v_mov_b32_dpp v41, v252 row_shr:8 row_mask:0xf bank_mask:0xf// 00000000E378: 7E5202FA FF0118FC
	v_mov_b32_dpp v42, v252 row_shl:8 row_mask:0xf bank_mask:0xf// 00000000E380: 7E5402FA FF0108FC
	v_mov_b32_dpp v43, v253 row_shr:8 row_mask:0xf bank_mask:0xf// 00000000E388: 7E5602FA FF0118FD
	v_mov_b32_dpp v44, v253 row_shl:8 row_mask:0xf bank_mask:0xf// 00000000E390: 7E5802FA FF0108FD
	v_mov_b32_e32 v45, v252                                    // 00000000E398: 7E5A03FC
	v_mov_b32_e32 v46, v253                                    // 00000000E39C: 7E5C03FD
	v_cndmask_b32_e64 v252, v45, v41, s[42:43]                 // 00000000E3A0: D10000FC 00AA532D
	v_cndmask_b32_e64 v254, v45, v42, s[78:79]                 // 00000000E3A8: D10000FE 013A552D
	v_cndmask_b32_e64 v253, v46, v43, s[42:43]                 // 00000000E3B0: D10000FD 00AA572E
	v_cndmask_b32_e64 v255, v46, v44, s[78:79]                 // 00000000E3B8: D10000FF 013A592E
	v_mul_f32_e32 v144, v55, v144                              // 00000000E3C0: 0B212137
	v_mul_f32_e32 v145, v55, v145                              // 00000000E3C4: 0B232337
	v_mul_f32_e32 v146, v55, v146                              // 00000000E3C8: 0B252537
	v_mul_f32_e32 v147, v55, v147                              // 00000000E3CC: 0B272737
	v_mul_f32_e32 v148, v55, v148                              // 00000000E3D0: 0B292937
	v_mul_f32_e32 v149, v55, v149                              // 00000000E3D4: 0B2B2B37
	v_mul_f32_e32 v150, v55, v150                              // 00000000E3D8: 0B2D2D37
	v_mul_f32_e32 v151, v55, v151                              // 00000000E3DC: 0B2F2F37
	v_mul_f32_e32 v152, v55, v152                              // 00000000E3E0: 0B313137
	v_mul_f32_e32 v153, v55, v153                              // 00000000E3E4: 0B333337
	v_mul_f32_e32 v154, v55, v154                              // 00000000E3E8: 0B353537
	v_mul_f32_e32 v155, v55, v155                              // 00000000E3EC: 0B373737
	v_mul_f32_e32 v156, v55, v156                              // 00000000E3F0: 0B393937
	v_mul_f32_e32 v157, v55, v157                              // 00000000E3F4: 0B3B3B37
	v_mul_f32_e32 v158, v55, v158                              // 00000000E3F8: 0B3D3D37
	v_mul_f32_e32 v159, v55, v159                              // 00000000E3FC: 0B3F3F37
	v_mul_f32_dpp v144, v248, v144 quad_perm:[0,0,0,0] row_mask:0xf bank_mask:0xf// 00000000E400: 0B2120FA FF0000F8
	v_mul_f32_dpp v145, v248, v145 quad_perm:[1,1,1,1] row_mask:0xf bank_mask:0xf// 00000000E408: 0B2322FA FF0055F8
	v_mul_f32_dpp v146, v248, v146 quad_perm:[2,2,2,2] row_mask:0xf bank_mask:0xf// 00000000E410: 0B2524FA FF00AAF8
	v_mul_f32_dpp v147, v248, v147 quad_perm:[3,3,3,3] row_mask:0xf bank_mask:0xf// 00000000E418: 0B2726FA FF00FFF8
	v_mul_f32_dpp v148, v249, v148 quad_perm:[0,0,0,0] row_mask:0xf bank_mask:0xf// 00000000E420: 0B2928FA FF0000F9
	v_mul_f32_dpp v149, v249, v149 quad_perm:[1,1,1,1] row_mask:0xf bank_mask:0xf// 00000000E428: 0B2B2AFA FF0055F9
	v_mul_f32_dpp v150, v249, v150 quad_perm:[2,2,2,2] row_mask:0xf bank_mask:0xf// 00000000E430: 0B2D2CFA FF00AAF9
	v_mul_f32_dpp v151, v249, v151 quad_perm:[3,3,3,3] row_mask:0xf bank_mask:0xf// 00000000E438: 0B2F2EFA FF00FFF9
	v_mul_f32_dpp v152, v250, v152 quad_perm:[0,0,0,0] row_mask:0xf bank_mask:0xf// 00000000E440: 0B3130FA FF0000FA
	v_mul_f32_dpp v153, v250, v153 quad_perm:[1,1,1,1] row_mask:0xf bank_mask:0xf// 00000000E448: 0B3332FA FF0055FA
	v_mul_f32_dpp v154, v250, v154 quad_perm:[2,2,2,2] row_mask:0xf bank_mask:0xf// 00000000E450: 0B3534FA FF00AAFA
	v_mul_f32_dpp v155, v250, v155 quad_perm:[3,3,3,3] row_mask:0xf bank_mask:0xf// 00000000E458: 0B3736FA FF00FFFA
	v_mul_f32_dpp v156, v251, v156 quad_perm:[0,0,0,0] row_mask:0xf bank_mask:0xf// 00000000E460: 0B3938FA FF0000FB
	v_mul_f32_dpp v157, v251, v157 quad_perm:[1,1,1,1] row_mask:0xf bank_mask:0xf// 00000000E468: 0B3B3AFA FF0055FB
	v_mul_f32_dpp v158, v251, v158 quad_perm:[2,2,2,2] row_mask:0xf bank_mask:0xf// 00000000E470: 0B3D3CFA FF00AAFB
	v_mul_f32_dpp v159, v251, v159 quad_perm:[3,3,3,3] row_mask:0xf bank_mask:0xf// 00000000E478: 0B3F3EFA FF00FFFB
	s_cmp_le_i32 s90, s89                                      // 00000000E480: BF05595A
	s_cbranch_scc1 label_3115                                  // 00000000E484: BF850073
	v_mov_b32_e32 v69, 0xff800000                              // 00000000E488: 7E8A02FF FF800000
	s_mov_b32 s60, s90                                         // 00000000E490: BEBC005A
	s_add_u32 s61, s89, 0xff                                   // 00000000E494: 803DFF59 000000FF
	v_mov_b32_e32 v41, s61                                     // 00000000E49C: 7E52023D
	v_lshrrev_b32_e32 v240, 4, v0                              // 00000000E4A0: 21E00084
	v_mul_i32_i24_e32 v240, 4, v240                            // 00000000E4A4: 0DE1E084
	v_add_u32_e32 v240, s60, v240                              // 00000000E4A8: 69E1E03C
	v_and_b32_e32 v42, 15, v0                                  // 00000000E4AC: 2654008F
	v_lshrrev_b32_e32 v42, 3, v42                              // 00000000E4B0: 20545483
	s_mov_b32 s61, 2                                           // 00000000E4B4: BEBD0082
	s_mul_i32 s60, 16, s7                                      // 00000000E4B8: 923C0790
	v_add_u32_e32 v42, s61, v42                                // 00000000E4BC: 6854543D
	v_sub_u32_e32 v240, v240, v42                              // 00000000E4C0: 6BE055F0
	v_add_u32_e32 v240, s60, v240                              // 00000000E4C4: 69E1E03C
	v_add_u32_e32 v241, 1, v240                                // 00000000E4C8: 69E3E081
	v_add_u32_e32 v242, 2, v240                                // 00000000E4CC: 69E5E082
	v_add_u32_e32 v243, 3, v240                                // 00000000E4D0: 69E7E083
	v_cmp_le_u32_e64 s[40:41], v240, v41                       // 00000000E4D4: D0CB0028 000253F0
	v_add_u32_e32 v240, 64, v240                               // 00000000E4DC: 69E1E0C0
	s_nop 0                                                    // 00000000E4E0: BF800000
	v_cndmask_b32_e64 v144, v69, v144, s[40:41]                // 00000000E4E4: D1000090 00A32145
	v_cmp_le_u32_e64 s[40:41], v241, v41                       // 00000000E4EC: D0CB0028 000253F1
	v_add_u32_e32 v241, 64, v241                               // 00000000E4F4: 69E3E2C0
	s_nop 0                                                    // 00000000E4F8: BF800000
	v_cndmask_b32_e64 v145, v69, v145, s[40:41]                // 00000000E4FC: D1000091 00A32345
	v_cmp_le_u32_e64 s[40:41], v242, v41                       // 00000000E504: D0CB0028 000253F2
	v_add_u32_e32 v242, 64, v242                               // 00000000E50C: 69E5E4C0
	s_nop 0                                                    // 00000000E510: BF800000
	v_cndmask_b32_e64 v146, v69, v146, s[40:41]                // 00000000E514: D1000092 00A32545
	v_cmp_le_u32_e64 s[40:41], v243, v41                       // 00000000E51C: D0CB0028 000253F3
	v_add_u32_e32 v243, 64, v243                               // 00000000E524: 69E7E6C0
	s_nop 0                                                    // 00000000E528: BF800000
	v_cndmask_b32_e64 v147, v69, v147, s[40:41]                // 00000000E52C: D1000093 00A32745
	v_cmp_le_u32_e64 s[40:41], v240, v41                       // 00000000E534: D0CB0028 000253F0
	v_add_u32_e32 v240, 64, v240                               // 00000000E53C: 69E1E0C0
	s_nop 0                                                    // 00000000E540: BF800000
	v_cndmask_b32_e64 v148, v69, v148, s[40:41]                // 00000000E544: D1000094 00A32945
	v_cmp_le_u32_e64 s[40:41], v241, v41                       // 00000000E54C: D0CB0028 000253F1
	v_add_u32_e32 v241, 64, v241                               // 00000000E554: 69E3E2C0
	s_nop 0                                                    // 00000000E558: BF800000
	v_cndmask_b32_e64 v149, v69, v149, s[40:41]                // 00000000E55C: D1000095 00A32B45
	v_cmp_le_u32_e64 s[40:41], v242, v41                       // 00000000E564: D0CB0028 000253F2
	v_add_u32_e32 v242, 64, v242                               // 00000000E56C: 69E5E4C0
	s_nop 0                                                    // 00000000E570: BF800000
	v_cndmask_b32_e64 v150, v69, v150, s[40:41]                // 00000000E574: D1000096 00A32D45
	v_cmp_le_u32_e64 s[40:41], v243, v41                       // 00000000E57C: D0CB0028 000253F3
	v_add_u32_e32 v243, 64, v243                               // 00000000E584: 69E7E6C0
	s_nop 0                                                    // 00000000E588: BF800000
	v_cndmask_b32_e64 v151, v69, v151, s[40:41]                // 00000000E58C: D1000097 00A32F45
	v_cmp_le_u32_e64 s[40:41], v240, v41                       // 00000000E594: D0CB0028 000253F0
	v_add_u32_e32 v240, 64, v240                               // 00000000E59C: 69E1E0C0
	s_nop 0                                                    // 00000000E5A0: BF800000
	v_cndmask_b32_e64 v152, v69, v152, s[40:41]                // 00000000E5A4: D1000098 00A33145
	v_cmp_le_u32_e64 s[40:41], v241, v41                       // 00000000E5AC: D0CB0028 000253F1
	v_add_u32_e32 v241, 64, v241                               // 00000000E5B4: 69E3E2C0
	s_nop 0                                                    // 00000000E5B8: BF800000
	v_cndmask_b32_e64 v153, v69, v153, s[40:41]                // 00000000E5BC: D1000099 00A33345
	v_cmp_le_u32_e64 s[40:41], v242, v41                       // 00000000E5C4: D0CB0028 000253F2
	v_add_u32_e32 v242, 64, v242                               // 00000000E5CC: 69E5E4C0
	s_nop 0                                                    // 00000000E5D0: BF800000
	v_cndmask_b32_e64 v154, v69, v154, s[40:41]                // 00000000E5D4: D100009A 00A33545
	v_cmp_le_u32_e64 s[40:41], v243, v41                       // 00000000E5DC: D0CB0028 000253F3
	v_add_u32_e32 v243, 64, v243                               // 00000000E5E4: 69E7E6C0
	s_nop 0                                                    // 00000000E5E8: BF800000
	v_cndmask_b32_e64 v155, v69, v155, s[40:41]                // 00000000E5EC: D100009B 00A33745
	v_cmp_le_u32_e64 s[40:41], v240, v41                       // 00000000E5F4: D0CB0028 000253F0
	v_add_u32_e32 v240, 64, v240                               // 00000000E5FC: 69E1E0C0
	s_nop 0                                                    // 00000000E600: BF800000
	v_cndmask_b32_e64 v156, v69, v156, s[40:41]                // 00000000E604: D100009C 00A33945
	v_cmp_le_u32_e64 s[40:41], v241, v41                       // 00000000E60C: D0CB0028 000253F1
	v_add_u32_e32 v241, 64, v241                               // 00000000E614: 69E3E2C0
	s_nop 0                                                    // 00000000E618: BF800000
	v_cndmask_b32_e64 v157, v69, v157, s[40:41]                // 00000000E61C: D100009D 00A33B45
	v_cmp_le_u32_e64 s[40:41], v242, v41                       // 00000000E624: D0CB0028 000253F2
	v_add_u32_e32 v242, 64, v242                               // 00000000E62C: 69E5E4C0
	s_nop 0                                                    // 00000000E630: BF800000
	v_cndmask_b32_e64 v158, v69, v158, s[40:41]                // 00000000E634: D100009E 00A33D45
	v_cmp_le_u32_e64 s[40:41], v243, v41                       // 00000000E63C: D0CB0028 000253F3
	v_add_u32_e32 v243, 64, v243                               // 00000000E644: 69E7E6C0
	s_nop 0                                                    // 00000000E648: BF800000
	v_cndmask_b32_e64 v159, v69, v159, s[40:41]                // 00000000E64C: D100009F 00A33F45

000000000000e654 <label_3115>:
	s_add_u32 s90, s91, s90                                    // 00000000E654: 805A5A5B
	v_mov_b32_e32 v62, v144                                    // 00000000E658: 7E7C0390
	v_max3_f32 v62, v144, v145, v62                            // 00000000E65C: D1D3003E 04FB2390
	v_max3_f32 v62, v146, v147, v62                            // 00000000E664: D1D3003E 04FB2792
	v_max3_f32 v62, v148, v149, v62                            // 00000000E66C: D1D3003E 04FB2B94
	v_max3_f32 v62, v150, v151, v62                            // 00000000E674: D1D3003E 04FB2F96
	v_max3_f32 v62, v152, v153, v62                            // 00000000E67C: D1D3003E 04FB3398
	v_max3_f32 v62, v154, v155, v62                            // 00000000E684: D1D3003E 04FB379A
	v_max3_f32 v62, v156, v157, v62                            // 00000000E68C: D1D3003E 04FB3B9C
	v_max3_f32 v62, v158, v159, v62                            // 00000000E694: D1D3003E 04FB3F9E
	ds_write_b32 v11, v62 offset:16896                         // 00000000E69C: D81A4200 00003E0B
	v_mul_f32_e32 v232, v64, v232                              // 00000000E6A4: 0BD1D140
	v_mul_f32_e32 v233, v64, v233                              // 00000000E6A8: 0BD3D340
	v_mul_f32_e32 v234, v64, v234                              // 00000000E6AC: 0BD5D540
	v_mul_f32_e32 v235, v64, v235                              // 00000000E6B0: 0BD7D740
	v_mul_f32_e32 v236, v64, v236                              // 00000000E6B4: 0BD9D940
	v_mul_f32_e32 v237, v64, v237                              // 00000000E6B8: 0BDBDB40
	v_mul_f32_e32 v238, v64, v238                              // 00000000E6BC: 0BDDDD40
	v_mul_f32_e32 v239, v64, v239                              // 00000000E6C0: 0BDFDF40
	s_waitcnt lgkmcnt(0)                                       // 00000000E6C4: BF8CC07F
	s_barrier                                                  // 00000000E6C8: BF8A0000
	ds_read_b32 v80, v10 offset:16896                          // 00000000E6CC: D86C4200 5000000A
	ds_read_b32 v81, v10 offset:16960                          // 00000000E6D4: D86C4240 5100000A
	ds_read_b32 v82, v10 offset:17024                          // 00000000E6DC: D86C4280 5200000A
	ds_read_b32 v83, v10 offset:17088                          // 00000000E6E4: D86C42C0 5300000A
	ds_read_b32 v84, v10 offset:17152                          // 00000000E6EC: D86C4300 5400000A
	ds_read_b32 v85, v10 offset:17216                          // 00000000E6F4: D86C4340 5500000A
	ds_read_b32 v86, v10 offset:17280                          // 00000000E6FC: D86C4380 5600000A
	ds_read_b32 v87, v10 offset:17344                          // 00000000E704: D86C43C0 5700000A
	ds_read_b32 v88, v10 offset:17408                          // 00000000E70C: D86C4400 5800000A
	ds_read_b32 v89, v10 offset:17472                          // 00000000E714: D86C4440 5900000A
	ds_read_b32 v90, v10 offset:17536                          // 00000000E71C: D86C4480 5A00000A
	ds_read_b32 v91, v10 offset:17600                          // 00000000E724: D86C44C0 5B00000A
	ds_read_b32 v92, v10 offset:17664                          // 00000000E72C: D86C4500 5C00000A
	ds_read_b32 v93, v10 offset:17728                          // 00000000E734: D86C4540 5D00000A
	ds_read_b32 v94, v10 offset:17792                          // 00000000E73C: D86C4580 5E00000A
	ds_read_b32 v95, v10 offset:17856                          // 00000000E744: D86C45C0 5F00000A
	v_mul_f32_e32 v200, v59, v200                              // 00000000E74C: 0B91913B
	v_mul_f32_e32 v201, v59, v201                              // 00000000E750: 0B93933B
	v_mul_f32_e32 v202, v59, v202                              // 00000000E754: 0B95953B
	v_mul_f32_e32 v203, v59, v203                              // 00000000E758: 0B97973B
	v_mul_f32_e32 v204, v59, v204                              // 00000000E75C: 0B99993B
	v_mul_f32_e32 v205, v59, v205                              // 00000000E760: 0B9B9B3B
	v_mul_f32_e32 v206, v59, v206                              // 00000000E764: 0B9D9D3B
	v_mul_f32_e32 v207, v59, v207                              // 00000000E768: 0B9F9F3B
	s_waitcnt lgkmcnt(0)                                       // 00000000E76C: BF8CC07F
	v_max3_f32 v62, v80, v81, v62                              // 00000000E770: D1D3003E 04FAA350
	v_max3_f32 v62, v82, v83, v62                              // 00000000E778: D1D3003E 04FAA752
	v_max3_f32 v62, v84, v85, v62                              // 00000000E780: D1D3003E 04FAAB54
	v_max3_f32 v62, v86, v87, v62                              // 00000000E788: D1D3003E 04FAAF56
	v_max3_f32 v62, v88, v89, v62                              // 00000000E790: D1D3003E 04FAB358
	v_max3_f32 v62, v90, v91, v62                              // 00000000E798: D1D3003E 04FAB75A
	v_max3_f32 v62, v92, v93, v62                              // 00000000E7A0: D1D3003E 04FABB5C
	v_max3_f32 v62, v94, v95, v62                              // 00000000E7A8: D1D3003E 04FABF5E
	v_mov_b32_e32 v41, 0xff800000                              // 00000000E7B0: 7E5202FF FF800000
	v_cmp_eq_u32_e64 s[40:41], v41, v15                        // 00000000E7B8: D0CA0028 00021F29
	s_nop 1                                                    // 00000000E7C0: BF800001
	v_max_f32_e32 v18, v62, v15                                // 00000000E7C4: 16241F3E
	v_mul_f32_e32 v67, s64, v18                                // 00000000E7C8: 0A862440
	v_fma_f32 v144, v144, s64, -v67                            // 00000000E7CC: D1CB0090 850C8190
	v_fma_f32 v145, v145, s64, -v67                            // 00000000E7D4: D1CB0091 850C8191
	v_fma_f32 v146, v146, s64, -v67                            // 00000000E7DC: D1CB0092 850C8192
	v_fma_f32 v147, v147, s64, -v67                            // 00000000E7E4: D1CB0093 850C8193
	v_fma_f32 v148, v148, s64, -v67                            // 00000000E7EC: D1CB0094 850C8194
	v_fma_f32 v149, v149, s64, -v67                            // 00000000E7F4: D1CB0095 850C8195
	v_fma_f32 v150, v150, s64, -v67                            // 00000000E7FC: D1CB0096 850C8196
	v_fma_f32 v151, v151, s64, -v67                            // 00000000E804: D1CB0097 850C8197
	v_fma_f32 v152, v152, s64, -v67                            // 00000000E80C: D1CB0098 850C8198
	v_fma_f32 v153, v153, s64, -v67                            // 00000000E814: D1CB0099 850C8199
	v_fma_f32 v154, v154, s64, -v67                            // 00000000E81C: D1CB009A 850C819A
	v_fma_f32 v155, v155, s64, -v67                            // 00000000E824: D1CB009B 850C819B
	v_fma_f32 v156, v156, s64, -v67                            // 00000000E82C: D1CB009C 850C819C
	v_fma_f32 v157, v157, s64, -v67                            // 00000000E834: D1CB009D 850C819D
	v_fma_f32 v158, v158, s64, -v67                            // 00000000E83C: D1CB009E 850C819E
	v_fma_f32 v159, v159, s64, -v67                            // 00000000E844: D1CB009F 850C819F
	v_exp_f32_e32 v144, v144                                   // 00000000E84C: 7F204190
	v_exp_f32_e32 v145, v145                                   // 00000000E850: 7F224191
	v_exp_f32_e32 v146, v146                                   // 00000000E854: 7F244192
	v_exp_f32_e32 v147, v147                                   // 00000000E858: 7F264193
	v_exp_f32_e32 v148, v148                                   // 00000000E85C: 7F284194
	v_exp_f32_e32 v149, v149                                   // 00000000E860: 7F2A4195
	v_exp_f32_e32 v150, v150                                   // 00000000E864: 7F2C4196
	v_exp_f32_e32 v151, v151                                   // 00000000E868: 7F2E4197
	v_exp_f32_e32 v152, v152                                   // 00000000E86C: 7F304198
	v_exp_f32_e32 v153, v153                                   // 00000000E870: 7F324199
	v_exp_f32_e32 v154, v154                                   // 00000000E874: 7F34419A
	v_exp_f32_e32 v155, v155                                   // 00000000E878: 7F36419B
	v_exp_f32_e32 v156, v156                                   // 00000000E87C: 7F38419C
	v_exp_f32_e32 v157, v157                                   // 00000000E880: 7F3A419D
	v_exp_f32_e32 v158, v158                                   // 00000000E884: 7F3C419E
	v_exp_f32_e32 v159, v159                                   // 00000000E888: 7F3E419F
	v_mul_f32_dpp v240, v252, v144 quad_perm:[0,0,0,0] row_mask:0xf bank_mask:0xf// 00000000E88C: 0BE120FA FF0000FC
	v_mul_f32_dpp v241, v252, v145 quad_perm:[1,1,1,1] row_mask:0xf bank_mask:0xf// 00000000E894: 0BE322FA FF0055FC
	v_mul_f32_dpp v242, v252, v146 quad_perm:[2,2,2,2] row_mask:0xf bank_mask:0xf// 00000000E89C: 0BE524FA FF00AAFC
	v_mul_f32_dpp v243, v252, v147 quad_perm:[3,3,3,3] row_mask:0xf bank_mask:0xf// 00000000E8A4: 0BE726FA FF00FFFC
	v_mul_f32_dpp v244, v253, v148 quad_perm:[0,0,0,0] row_mask:0xf bank_mask:0xf// 00000000E8AC: 0BE928FA FF0000FD
	v_mul_f32_dpp v245, v253, v149 quad_perm:[1,1,1,1] row_mask:0xf bank_mask:0xf// 00000000E8B4: 0BEB2AFA FF0055FD
	v_mul_f32_dpp v246, v253, v150 quad_perm:[2,2,2,2] row_mask:0xf bank_mask:0xf// 00000000E8BC: 0BED2CFA FF00AAFD
	v_mul_f32_dpp v247, v253, v151 quad_perm:[3,3,3,3] row_mask:0xf bank_mask:0xf// 00000000E8C4: 0BEF2EFA FF00FFFD
	v_mul_f32_dpp v248, v254, v152 quad_perm:[0,0,0,0] row_mask:0xf bank_mask:0xf// 00000000E8CC: 0BF130FA FF0000FE
	v_mul_f32_dpp v249, v254, v153 quad_perm:[1,1,1,1] row_mask:0xf bank_mask:0xf// 00000000E8D4: 0BF332FA FF0055FE
	v_mul_f32_dpp v250, v254, v154 quad_perm:[2,2,2,2] row_mask:0xf bank_mask:0xf// 00000000E8DC: 0BF534FA FF00AAFE
	v_mul_f32_dpp v251, v254, v155 quad_perm:[3,3,3,3] row_mask:0xf bank_mask:0xf// 00000000E8E4: 0BF736FA FF00FFFE
	v_mul_f32_dpp v252, v255, v156 quad_perm:[0,0,0,0] row_mask:0xf bank_mask:0xf// 00000000E8EC: 0BF938FA FF0000FF
	v_mul_f32_dpp v253, v255, v157 quad_perm:[1,1,1,1] row_mask:0xf bank_mask:0xf// 00000000E8F4: 0BFB3AFA FF0055FF
	v_mul_f32_dpp v254, v255, v158 quad_perm:[2,2,2,2] row_mask:0xf bank_mask:0xf// 00000000E8FC: 0BFD3CFA FF00AAFF
	v_mul_f32_dpp v255, v255, v159 quad_perm:[3,3,3,3] row_mask:0xf bank_mask:0xf// 00000000E904: 0BFF3EFA FF00FFFF
	v_mov_b32_e32 v62, 0x358637bd                              // 00000000E90C: 7E7C02FF 358637BD
	v_max3_f32 v62, |v240|, |v241|, v62                        // 00000000E914: D1D3033E 04FBE3F0
	v_max3_f32 v62, |v242|, |v243|, v62                        // 00000000E91C: D1D3033E 04FBE7F2
	v_max3_f32 v62, |v244|, |v245|, v62                        // 00000000E924: D1D3033E 04FBEBF4
	v_max3_f32 v62, |v246|, |v247|, v62                        // 00000000E92C: D1D3033E 04FBEFF6
	v_max3_f32 v62, |v248|, |v249|, v62                        // 00000000E934: D1D3033E 04FBF3F8
	v_max3_f32 v62, |v250|, |v251|, v62                        // 00000000E93C: D1D3033E 04FBF7FA
	v_max3_f32 v62, |v252|, |v253|, v62                        // 00000000E944: D1D3033E 04FBFBFC
	v_max3_f32 v62, |v254|, |v255|, v62                        // 00000000E94C: D1D3033E 04FBFFFE
	ds_write_b32 v11, v62 offset:20992                         // 00000000E954: D81A5200 00003E0B
	v_sub_f32_e32 v64, v15, v18                                // 00000000E95C: 0480250F
	v_cndmask_b32_e64 v64, v64, 0, s[40:41]                    // 00000000E960: D1000040 00A10140
	v_mov_b32_e32 v15, v18                                     // 00000000E968: 7E1E0312
	v_mul_f32_e32 v64, s64, v64                                // 00000000E96C: 0A808040
	v_exp_f32_e32 v64, v64                                     // 00000000E970: 7E804140
	s_waitcnt lgkmcnt(0)                                       // 00000000E974: BF8CC07F
	s_barrier                                                  // 00000000E978: BF8A0000
	ds_read_b32 v80, v10 offset:20992                          // 00000000E97C: D86C5200 5000000A
	ds_read_b32 v81, v10 offset:21056                          // 00000000E984: D86C5240 5100000A
	ds_read_b32 v82, v10 offset:21120                          // 00000000E98C: D86C5280 5200000A
	ds_read_b32 v83, v10 offset:21184                          // 00000000E994: D86C52C0 5300000A
	ds_read_b32 v84, v10 offset:21248                          // 00000000E99C: D86C5300 5400000A
	ds_read_b32 v85, v10 offset:21312                          // 00000000E9A4: D86C5340 5500000A
	ds_read_b32 v86, v10 offset:21376                          // 00000000E9AC: D86C5380 5600000A
	ds_read_b32 v87, v10 offset:21440                          // 00000000E9B4: D86C53C0 5700000A
	ds_read_b32 v88, v10 offset:21504                          // 00000000E9BC: D86C5400 5800000A
	ds_read_b32 v89, v10 offset:21568                          // 00000000E9C4: D86C5440 5900000A
	ds_read_b32 v90, v10 offset:21632                          // 00000000E9CC: D86C5480 5A00000A
	ds_read_b32 v91, v10 offset:21696                          // 00000000E9D4: D86C54C0 5B00000A
	ds_read_b32 v92, v10 offset:21760                          // 00000000E9DC: D86C5500 5C00000A
	ds_read_b32 v93, v10 offset:21824                          // 00000000E9E4: D86C5540 5D00000A
	ds_read_b32 v94, v10 offset:21888                          // 00000000E9EC: D86C5580 5E00000A
	ds_read_b32 v95, v10 offset:21952                          // 00000000E9F4: D86C55C0 5F00000A
	v_mul_f32_e32 v48, v64, v48                                // 00000000E9FC: 0A606140
	v_mov_b32_e32 v18, v144                                    // 00000000EA00: 7E240390
	v_add_f32_e32 v18, v145, v18                               // 00000000EA04: 02242591
	v_add_f32_e32 v18, v146, v18                               // 00000000EA08: 02242592
	v_add_f32_e32 v18, v147, v18                               // 00000000EA0C: 02242593
	v_add_f32_e32 v18, v148, v18                               // 00000000EA10: 02242594
	v_add_f32_e32 v18, v149, v18                               // 00000000EA14: 02242595
	v_add_f32_e32 v18, v150, v18                               // 00000000EA18: 02242596
	v_add_f32_e32 v18, v151, v18                               // 00000000EA1C: 02242597
	v_add_f32_e32 v18, v152, v18                               // 00000000EA20: 02242598
	v_add_f32_e32 v18, v153, v18                               // 00000000EA24: 02242599
	v_add_f32_e32 v18, v154, v18                               // 00000000EA28: 0224259A
	v_add_f32_e32 v18, v155, v18                               // 00000000EA2C: 0224259B
	v_add_f32_e32 v18, v156, v18                               // 00000000EA30: 0224259C
	v_add_f32_e32 v18, v157, v18                               // 00000000EA34: 0224259D
	v_add_f32_e32 v18, v158, v18                               // 00000000EA38: 0224259E
	v_add_f32_e32 v18, v159, v18                               // 00000000EA3C: 0224259F
	v_add_f32_e32 v48, v18, v48                                // 00000000EA40: 02606112
	s_waitcnt lgkmcnt(0)                                       // 00000000EA44: BF8CC07F
	v_max3_f32 v62, |v80|, |v81|, v62                          // 00000000EA48: D1D3033E 04FAA350
	v_max3_f32 v62, |v82|, |v83|, v62                          // 00000000EA50: D1D3033E 04FAA752
	v_max3_f32 v62, |v84|, |v85|, v62                          // 00000000EA58: D1D3033E 04FAAB54
	v_max3_f32 v62, |v86|, |v87|, v62                          // 00000000EA60: D1D3033E 04FAAF56
	v_max3_f32 v62, |v88|, |v89|, v62                          // 00000000EA68: D1D3033E 04FAB358
	v_max3_f32 v62, |v90|, |v91|, v62                          // 00000000EA70: D1D3033E 04FAB75A
	v_max3_f32 v62, |v92|, |v93|, v62                          // 00000000EA78: D1D3033E 04FABB5C
	v_max3_f32 v62, |v94|, |v95|, v62                          // 00000000EA80: D1D3033E 04FABF5E
	s_nop 2                                                    // 00000000EA88: BF800002
	v_rcp_f32_e32 v62, v62                                     // 00000000EA8C: 7E7C453E
	s_nop 1                                                    // 00000000EA90: BF800001
	v_mul_f32_e32 v62, 0x43e00000, v62                         // 00000000EA94: 0A7C7CFF 43E00000
	v_mul_f32_e32 v144, v62, v240                              // 00000000EA9C: 0B21E13E
	v_mul_f32_e32 v145, v62, v241                              // 00000000EAA0: 0B23E33E
	v_mul_f32_e32 v146, v62, v242                              // 00000000EAA4: 0B25E53E
	v_mul_f32_e32 v147, v62, v243                              // 00000000EAA8: 0B27E73E
	v_mul_f32_e32 v148, v62, v244                              // 00000000EAAC: 0B29E93E
	v_mul_f32_e32 v149, v62, v245                              // 00000000EAB0: 0B2BEB3E
	v_mul_f32_e32 v150, v62, v246                              // 00000000EAB4: 0B2DED3E
	v_mul_f32_e32 v151, v62, v247                              // 00000000EAB8: 0B2FEF3E
	v_mul_f32_e32 v152, v62, v248                              // 00000000EABC: 0B31F13E
	v_mul_f32_e32 v153, v62, v249                              // 00000000EAC0: 0B33F33E
	v_mul_f32_e32 v154, v62, v250                              // 00000000EAC4: 0B35F53E
	v_mul_f32_e32 v155, v62, v251                              // 00000000EAC8: 0B37F73E
	v_mul_f32_e32 v156, v62, v252                              // 00000000EACC: 0B39F93E
	v_mul_f32_e32 v157, v62, v253                              // 00000000EAD0: 0B3BFB3E
	v_mul_f32_e32 v158, v62, v254                              // 00000000EAD4: 0B3DFD3E
	v_mul_f32_e32 v159, v62, v255                              // 00000000EAD8: 0B3FFF3E
	v_cvt_pk_fp8_f32 v144, v144, v145                          // 00000000EADC: D2A20090 00032390
	v_cvt_pk_fp8_f32 v144, v146, v147 op_sel:[0,0,1]           // 00000000EAE4: D2A24090 00032792
	v_cvt_pk_fp8_f32 v145, v148, v149                          // 00000000EAEC: D2A20091 00032B94
	v_cvt_pk_fp8_f32 v145, v150, v151 op_sel:[0,0,1]           // 00000000EAF4: D2A24091 00032F96
	v_cvt_pk_fp8_f32 v146, v152, v153                          // 00000000EAFC: D2A20092 00033398
	v_cvt_pk_fp8_f32 v146, v154, v155 op_sel:[0,0,1]           // 00000000EB04: D2A24092 0003379A
	v_cvt_pk_fp8_f32 v147, v156, v157                          // 00000000EB0C: D2A20093 00033B9C
	v_cvt_pk_fp8_f32 v147, v158, v159 op_sel:[0,0,1]           // 00000000EB14: D2A24093 00033F9E
	ds_write_b32 v13, v144 offset:29184                        // 00000000EB1C: D81A7200 0000900D
	ds_write_b32 v13, v145 offset:30208                        // 00000000EB24: D81A7600 0000910D
	ds_write_b32 v13, v146 offset:31232                        // 00000000EB2C: D81A7A00 0000920D
	ds_write_b32 v13, v147 offset:32256                        // 00000000EB34: D81A7E00 0000930D
	v_add_f32_e32 v232, v232, v200                             // 00000000EB3C: 03D191E8
	v_add_f32_e32 v233, v233, v201                             // 00000000EB40: 03D393E9
	v_add_f32_e32 v234, v234, v202                             // 00000000EB44: 03D595EA
	v_add_f32_e32 v235, v235, v203                             // 00000000EB48: 03D797EB
	v_add_f32_e32 v236, v236, v204                             // 00000000EB4C: 03D999EC
	v_add_f32_e32 v237, v237, v205                             // 00000000EB50: 03DB9BED
	v_add_f32_e32 v238, v238, v206                             // 00000000EB54: 03DD9DEE
	v_add_f32_e32 v239, v239, v207                             // 00000000EB58: 03DF9FEF
	v_rcp_f32_e32 v59, v62                                     // 00000000EB5C: 7E76453E
	s_waitcnt lgkmcnt(0)                                       // 00000000EB60: BF8CC07F
	s_barrier                                                  // 00000000EB64: BF8A0000
	ds_read_b64 v[144:145], v12 offset:29184                   // 00000000EB68: D8EC7200 9000000C
	ds_read_b64 v[146:147], v12 offset:29312                   // 00000000EB70: D8EC7280 9200000C
	ds_read_b64 v[148:149], v12 offset:30208                   // 00000000EB78: D8EC7600 9400000C
	ds_read_b64 v[150:151], v12 offset:30336                   // 00000000EB80: D8EC7680 9600000C
	ds_read_b64 v[152:153], v12 offset:31232                   // 00000000EB88: D8EC7A00 9800000C
	ds_read_b64 v[154:155], v12 offset:31360                   // 00000000EB90: D8EC7A80 9A00000C
	ds_read_b64 v[156:157], v12 offset:32256                   // 00000000EB98: D8EC7E00 9C00000C
	ds_read_b64 v[158:159], v12 offset:32384                   // 00000000EBA0: D8EC7E80 9E00000C
	s_waitcnt vmcnt(15)                                        // 00000000EBA8: BF8C0F7F
	v_mfma_f32_16x16x32_fp8_fp8 v[192:195], a[64:65], v[128:129], 0// 00000000EBAC: D3F300C0 0A030140
	buffer_load_dwordx4 a[112:115], v37, s[20:23], 0 offen offset:1024// 00000000EBB4: E05C1400 80857025
	v_mfma_f32_16x16x32_fp8_fp8 v[192:195], a[66:67], v[130:131], v[192:195]// 00000000EBBC: D3F300C0 0F030542
	v_mfma_f32_16x16x32_fp8_fp8 v[192:195], a[68:69], v[132:133], v[192:195]// 00000000EBC4: D3F300C0 0F030944
	v_mfma_f32_16x16x32_fp8_fp8 v[192:195], a[70:71], v[134:135], v[192:195]// 00000000EBCC: D3F300C0 0F030D46
	v_mfma_f32_16x16x32_fp8_fp8 v[192:195], a[72:73], v[136:137], v[192:195]// 00000000EBD4: D3F300C0 0F031148
	buffer_load_dwordx4 a[116:119], v38, s[20:23], 0 offen offset:1024// 00000000EBDC: E05C1400 80857426
	v_mfma_f32_16x16x32_fp8_fp8 v[192:195], a[74:75], v[138:139], v[192:195]// 00000000EBE4: D3F300C0 0F03154A
	v_mfma_f32_16x16x32_fp8_fp8 v[192:195], a[76:77], v[140:141], v[192:195]// 00000000EBEC: D3F300C0 0F03194C
	v_mfma_f32_16x16x32_fp8_fp8 v[192:195], a[78:79], v[142:143], v[192:195]// 00000000EBF4: D3F300C0 0F031D4E
	v_mfma_f32_16x16x32_fp8_fp8 v[196:199], a[80:81], v[128:129], 0// 00000000EBFC: D3F300C4 0A030150
	buffer_load_dwordx4 a[120:123], v39, s[20:23], 0 offen offset:1024// 00000000EC04: E05C1400 80857827
	v_mfma_f32_16x16x32_fp8_fp8 v[196:199], a[82:83], v[130:131], v[196:199]// 00000000EC0C: D3F300C4 0F130552
	v_mfma_f32_16x16x32_fp8_fp8 v[196:199], a[84:85], v[132:133], v[196:199]// 00000000EC14: D3F300C4 0F130954
	v_mfma_f32_16x16x32_fp8_fp8 v[196:199], a[86:87], v[134:135], v[196:199]// 00000000EC1C: D3F300C4 0F130D56
	v_mfma_f32_16x16x32_fp8_fp8 v[196:199], a[88:89], v[136:137], v[196:199]// 00000000EC24: D3F300C4 0F131158
	buffer_load_dwordx4 a[124:127], v40, s[20:23], 0 offen offset:1024// 00000000EC2C: E05C1400 80857C28
	v_mfma_f32_16x16x32_fp8_fp8 v[196:199], a[90:91], v[138:139], v[196:199]// 00000000EC34: D3F300C4 0F13155A
	v_mfma_f32_16x16x32_fp8_fp8 v[196:199], a[92:93], v[140:141], v[196:199]// 00000000EC3C: D3F300C4 0F13195C
	s_lshr_b32 s57, s70, 4                                     // 00000000EC44: 8F398446
	s_add_u32 s57, 48, s57                                     // 00000000EC48: 803939B0
	v_mfma_f32_16x16x32_fp8_fp8 v[196:199], a[94:95], v[142:143], v[196:199]// 00000000EC4C: D3F300C4 0F131D5E
	s_cmp_ge_u32 s57, s73                                      // 00000000EC54: BF094939
	s_cselect_b32 s56, 0, s56                                  // 00000000EC58: 85383880
	v_mfma_f32_16x16x32_fp8_fp8 v[200:203], a[64:65], v[144:145], 0// 00000000EC5C: D3F300C8 0A032140
	v_mfma_f32_16x16x32_fp8_fp8 v[200:203], a[66:67], v[146:147], v[200:203]// 00000000EC64: D3F300C8 0F232542
	v_mfma_f32_16x16x32_fp8_fp8 v[200:203], a[68:69], v[148:149], v[200:203]// 00000000EC6C: D3F300C8 0F232944
	v_mfma_f32_16x16x32_fp8_fp8 v[200:203], a[70:71], v[150:151], v[200:203]// 00000000EC74: D3F300C8 0F232D46
	v_mfma_f32_16x16x32_fp8_fp8 v[200:203], a[72:73], v[152:153], v[200:203]// 00000000EC7C: D3F300C8 0F233148
	v_mfma_f32_16x16x32_fp8_fp8 v[200:203], a[74:75], v[154:155], v[200:203]// 00000000EC84: D3F300C8 0F23354A
	v_mfma_f32_16x16x32_fp8_fp8 v[200:203], a[76:77], v[156:157], v[200:203]// 00000000EC8C: D3F300C8 0F23394C
	v_mfma_f32_16x16x32_fp8_fp8 v[200:203], a[78:79], v[158:159], v[200:203]// 00000000EC94: D3F300C8 0F233D4E
	v_mfma_f32_16x16x32_fp8_fp8 v[204:207], a[80:81], v[144:145], 0// 00000000EC9C: D3F300CC 0A032150
	v_mfma_f32_16x16x32_fp8_fp8 v[204:207], a[82:83], v[146:147], v[204:207]// 00000000ECA4: D3F300CC 0F332552
	v_mfma_f32_16x16x32_fp8_fp8 v[204:207], a[84:85], v[148:149], v[204:207]// 00000000ECAC: D3F300CC 0F332954
	v_mfma_f32_16x16x32_fp8_fp8 v[204:207], a[86:87], v[150:151], v[204:207]// 00000000ECB4: D3F300CC 0F332D56
	v_mfma_f32_16x16x32_fp8_fp8 v[204:207], a[88:89], v[152:153], v[204:207]// 00000000ECBC: D3F300CC 0F333158
	v_mfma_f32_16x16x32_fp8_fp8 v[204:207], a[90:91], v[154:155], v[204:207]// 00000000ECC4: D3F300CC 0F33355A
	v_mfma_f32_16x16x32_fp8_fp8 v[204:207], a[92:93], v[156:157], v[204:207]// 00000000ECCC: D3F300CC 0F33395C
	v_mfma_f32_16x16x32_fp8_fp8 v[204:207], a[94:95], v[158:159], v[204:207]// 00000000ECD4: D3F300CC 0F333D5E
	v_add_u32_e32 v1, s56, v1                                  // 00000000ECDC: 68020238
	s_addk_i32 s70, 0x100                                      // 00000000ECE0: B7460100
	s_cmp_lt_i32 s70, s71                                      // 00000000ECE4: BF044746
	s_cbranch_scc0 label_2D8F                                  // 00000000ECE8: BF84FAD4
	s_waitcnt vmcnt(8) lgkmcnt(0)                              // 00000000ECEC: BF8C0078
	v_mul_u32_u24_dpp v41, v19, v68 row_newbcast:0 row_mask:0xf bank_mask:0xf// 00000000ECF0: 105288FA FF015013
	v_mul_u32_u24_dpp v42, v19, v68 row_newbcast:4 row_mask:0xf bank_mask:0xf// 00000000ECF8: 105488FA FF015413
	v_mul_u32_u24_dpp v43, v19, v68 row_newbcast:8 row_mask:0xf bank_mask:0xf// 00000000ED00: 105688FA FF015813
	v_mul_u32_u24_dpp v44, v19, v68 row_newbcast:12 row_mask:0xf bank_mask:0xf// 00000000ED08: 105888FA FF015C13
	v_add_u32_e32 v25, v41, v6                                 // 00000000ED10: 68320D29
	v_add_u32_e32 v26, v42, v6                                 // 00000000ED14: 68340D2A
	v_add_u32_e32 v27, v43, v6                                 // 00000000ED18: 68360D2B
	v_add_u32_e32 v28, v44, v6                                 // 00000000ED1C: 68380D2C
	v_mul_u32_u24_dpp v41, v19, v78 quad_perm:[0,0,0,0] row_mask:0xf bank_mask:0xf// 00000000ED20: 10529CFA FF000013
	v_add_u32_e32 v2, v41, v74                                 // 00000000ED28: 68049529
	v_mul_u32_u24_dpp v41, v19, v78 quad_perm:[0,0,0,0] row_mask:0xf bank_mask:0xf// 00000000ED2C: 10529CFA FF000013
	v_add_u32_e32 v70, v41, v75                                // 00000000ED34: 688C9729
	v_mfma_f32_16x16x32_fp8_fp8 v[128:131], a[32:33], v[96:97], 0// 00000000ED38: D3F30080 0A02C120
	buffer_load_dwordx4 a[0:3], v25, s[16:19], 0 offen         // 00000000ED40: E05C1000 80840019
	v_mfma_f32_16x16x32_fp8_fp8 v[128:131], a[34:35], v[98:99], v[128:131]// 00000000ED48: D3F30080 0E02C522
	v_mfma_f32_16x16x32_fp8_fp8 v[128:131], a[36:37], v[100:101], v[128:131]// 00000000ED50: D3F30080 0E02C924
	buffer_load_dword v20, v1, s[24:27], 0 offen               // 00000000ED58: E0501000 80061401
	v_mfma_f32_16x16x32_fp8_fp8 v[128:131], a[38:39], v[102:103], v[128:131]// 00000000ED60: D3F30080 0E02CD26
	v_mfma_f32_16x16x32_fp8_fp8 v[132:135], a[40:41], v[96:97], 0// 00000000ED68: D3F30084 0A02C128
	buffer_load_dwordx4 a[4:7], v25, s[16:19], 0 offen offset:1024// 00000000ED70: E05C1400 80840419
	v_mfma_f32_16x16x32_fp8_fp8 v[132:135], a[42:43], v[98:99], v[132:135]// 00000000ED78: D3F30084 0E12C52A
	v_mfma_f32_16x16x32_fp8_fp8 v[132:135], a[44:45], v[100:101], v[132:135]// 00000000ED80: D3F30084 0E12C92C
	v_mfma_f32_16x16x32_fp8_fp8 v[132:135], a[46:47], v[102:103], v[132:135]// 00000000ED88: D3F30084 0E12CD2E
	v_mfma_f32_16x16x32_fp8_fp8 v[136:139], a[48:49], v[96:97], 0// 00000000ED90: D3F30088 0A02C130
	buffer_load_dwordx4 a[8:11], v26, s[16:19], 0 offen        // 00000000ED98: E05C1000 8084081A
	v_mfma_f32_16x16x32_fp8_fp8 v[136:139], a[50:51], v[98:99], v[136:139]// 00000000EDA0: D3F30088 0E22C532
	v_mfma_f32_16x16x32_fp8_fp8 v[136:139], a[52:53], v[100:101], v[136:139]// 00000000EDA8: D3F30088 0E22C934
	v_mfma_f32_16x16x32_fp8_fp8 v[136:139], a[54:55], v[102:103], v[136:139]// 00000000EDB0: D3F30088 0E22CD36
	v_mfma_f32_16x16x32_fp8_fp8 v[140:143], a[56:57], v[96:97], 0// 00000000EDB8: D3F3008C 0A02C138
	buffer_load_dwordx4 a[12:15], v26, s[16:19], 0 offen offset:1024// 00000000EDC0: E05C1400 80840C1A
	v_mfma_f32_16x16x32_fp8_fp8 v[140:143], a[58:59], v[98:99], v[140:143]// 00000000EDC8: D3F3008C 0E32C53A
	v_mfma_f32_16x16x32_fp8_fp8 v[140:143], a[60:61], v[100:101], v[140:143]// 00000000EDD0: D3F3008C 0E32C93C
	v_mfma_f32_16x16x32_fp8_fp8 v[140:143], a[62:63], v[102:103], v[140:143]// 00000000EDD8: D3F3008C 0E32CD3E
	v_mfma_f32_16x16x32_fp8_fp8 v[144:147], a[32:33], v[104:105], 0// 00000000EDE0: D3F30090 0A02D120
	v_mfma_f32_16x16x32_fp8_fp8 v[144:147], a[34:35], v[106:107], v[144:147]// 00000000EDE8: D3F30090 0E42D522
	v_mfma_f32_16x16x32_fp8_fp8 v[144:147], a[36:37], v[108:109], v[144:147]// 00000000EDF0: D3F30090 0E42D924
	v_mfma_f32_16x16x32_fp8_fp8 v[144:147], a[38:39], v[110:111], v[144:147]// 00000000EDF8: D3F30090 0E42DD26
	v_mfma_f32_16x16x32_fp8_fp8 v[148:151], a[40:41], v[104:105], 0// 00000000EE00: D3F30094 0A02D128
	v_mfma_f32_16x16x32_fp8_fp8 v[148:151], a[42:43], v[106:107], v[148:151]// 00000000EE08: D3F30094 0E52D52A
	v_mfma_f32_16x16x32_fp8_fp8 v[148:151], a[44:45], v[108:109], v[148:151]// 00000000EE10: D3F30094 0E52D92C
	v_mfma_f32_16x16x32_fp8_fp8 v[148:151], a[46:47], v[110:111], v[148:151]// 00000000EE18: D3F30094 0E52DD2E
	v_mfma_f32_16x16x32_fp8_fp8 v[152:155], a[48:49], v[104:105], 0// 00000000EE20: D3F30098 0A02D130
	v_mfma_f32_16x16x32_fp8_fp8 v[152:155], a[50:51], v[106:107], v[152:155]// 00000000EE28: D3F30098 0E62D532
	v_mfma_f32_16x16x32_fp8_fp8 v[152:155], a[52:53], v[108:109], v[152:155]// 00000000EE30: D3F30098 0E62D934
	v_mfma_f32_16x16x32_fp8_fp8 v[152:155], a[54:55], v[110:111], v[152:155]// 00000000EE38: D3F30098 0E62DD36
	v_mfma_f32_16x16x32_fp8_fp8 v[156:159], a[56:57], v[104:105], 0// 00000000EE40: D3F3009C 0A02D138
	v_mfma_f32_16x16x32_fp8_fp8 v[156:159], a[58:59], v[106:107], v[156:159]// 00000000EE48: D3F3009C 0E72D53A
	v_mfma_f32_16x16x32_fp8_fp8 v[156:159], a[60:61], v[108:109], v[156:159]// 00000000EE50: D3F3009C 0E72D93C
	v_mfma_f32_16x16x32_fp8_fp8 v[156:159], a[62:63], v[110:111], v[156:159]// 00000000EE58: D3F3009C 0E72DD3E
	buffer_load_dword v52, v2, s[32:35], 0 offen               // 00000000EE60: E0501000 80083402
	v_mov_b32_dpp v41, v53 row_shr:4 row_mask:0xf bank_mask:0xf// 00000000EE68: 7E5202FA FF011435
	v_mov_b32_dpp v42, v53 row_shl:4 row_mask:0xf bank_mask:0xf// 00000000EE70: 7E5402FA FF010435
	v_cndmask_b32_e64 v248, v53, v41, s[44:45]                 // 00000000EE78: D10000F8 00B25335
	v_cndmask_b32_e64 v249, v42, v53, s[44:45]                 // 00000000EE80: D10000F9 00B26B2A
	v_mov_b32_dpp v41, v248 row_shr:8 row_mask:0xf bank_mask:0xf// 00000000EE88: 7E5202FA FF0118F8
	v_mov_b32_dpp v42, v248 row_shl:8 row_mask:0xf bank_mask:0xf// 00000000EE90: 7E5402FA FF0108F8
	v_mov_b32_dpp v43, v249 row_shr:8 row_mask:0xf bank_mask:0xf// 00000000EE98: 7E5602FA FF0118F9
	v_mov_b32_dpp v44, v249 row_shl:8 row_mask:0xf bank_mask:0xf// 00000000EEA0: 7E5802FA FF0108F9
	v_mov_b32_e32 v45, v248                                    // 00000000EEA8: 7E5A03F8
	v_mov_b32_e32 v46, v249                                    // 00000000EEAC: 7E5C03F9
	v_cndmask_b32_e64 v248, v45, v41, s[42:43]                 // 00000000EEB0: D10000F8 00AA532D
	v_cndmask_b32_e64 v250, v45, v42, s[78:79]                 // 00000000EEB8: D10000FA 013A552D
	v_cndmask_b32_e64 v249, v46, v43, s[42:43]                 // 00000000EEC0: D10000F9 00AA572E
	v_cndmask_b32_e64 v251, v46, v44, s[78:79]                 // 00000000EEC8: D10000FB 013A592E
	v_mov_b32_dpp v41, v73 row_shr:4 row_mask:0xf bank_mask:0xf// 00000000EED0: 7E5202FA FF011449
	v_mov_b32_dpp v42, v73 row_shl:4 row_mask:0xf bank_mask:0xf// 00000000EED8: 7E5402FA FF010449
	v_cndmask_b32_e64 v252, v73, v41, s[44:45]                 // 00000000EEE0: D10000FC 00B25349
	v_cndmask_b32_e64 v253, v42, v73, s[44:45]                 // 00000000EEE8: D10000FD 00B2932A
	v_mov_b32_dpp v41, v252 row_shr:8 row_mask:0xf bank_mask:0xf// 00000000EEF0: 7E5202FA FF0118FC
	v_mov_b32_dpp v42, v252 row_shl:8 row_mask:0xf bank_mask:0xf// 00000000EEF8: 7E5402FA FF0108FC
	v_mov_b32_dpp v43, v253 row_shr:8 row_mask:0xf bank_mask:0xf// 00000000EF00: 7E5602FA FF0118FD
	v_mov_b32_dpp v44, v253 row_shl:8 row_mask:0xf bank_mask:0xf// 00000000EF08: 7E5802FA FF0108FD
	v_mov_b32_e32 v45, v252                                    // 00000000EF10: 7E5A03FC
	v_mov_b32_e32 v46, v253                                    // 00000000EF14: 7E5C03FD
	v_cndmask_b32_e64 v252, v45, v41, s[42:43]                 // 00000000EF18: D10000FC 00AA532D
	v_cndmask_b32_e64 v254, v45, v42, s[78:79]                 // 00000000EF20: D10000FE 013A552D
	v_cndmask_b32_e64 v253, v46, v43, s[42:43]                 // 00000000EF28: D10000FD 00AA572E
	v_cndmask_b32_e64 v255, v46, v44, s[78:79]                 // 00000000EF30: D10000FF 013A592E
	buffer_load_dword v72, v70, s[36:39], 0 offen              // 00000000EF38: E0501000 80094846
	v_mul_f32_e32 v128, v54, v128                              // 00000000EF40: 0B010136
	v_mul_f32_e32 v129, v54, v129                              // 00000000EF44: 0B030336
	v_mul_f32_e32 v130, v54, v130                              // 00000000EF48: 0B050536
	v_mul_f32_e32 v131, v54, v131                              // 00000000EF4C: 0B070736
	v_mul_f32_e32 v132, v54, v132                              // 00000000EF50: 0B090936
	v_mul_f32_e32 v133, v54, v133                              // 00000000EF54: 0B0B0B36
	v_mul_f32_e32 v134, v54, v134                              // 00000000EF58: 0B0D0D36
	v_mul_f32_e32 v135, v54, v135                              // 00000000EF5C: 0B0F0F36
	v_mul_f32_e32 v136, v54, v136                              // 00000000EF60: 0B111136
	v_mul_f32_e32 v137, v54, v137                              // 00000000EF64: 0B131336
	v_mul_f32_e32 v138, v54, v138                              // 00000000EF68: 0B151536
	v_mul_f32_e32 v139, v54, v139                              // 00000000EF6C: 0B171736
	v_mul_f32_e32 v140, v54, v140                              // 00000000EF70: 0B191936
	v_mul_f32_e32 v141, v54, v141                              // 00000000EF74: 0B1B1B36
	v_mul_f32_e32 v142, v54, v142                              // 00000000EF78: 0B1D1D36
	v_mul_f32_e32 v143, v54, v143                              // 00000000EF7C: 0B1F1F36
	buffer_load_dwordx4 a[16:19], v27, s[16:19], 0 offen       // 00000000EF80: E05C1000 8084101B
	v_mul_f32_dpp v128, v248, v128 quad_perm:[0,0,0,0] row_mask:0xf bank_mask:0xf// 00000000EF88: 0B0100FA FF0000F8
	v_mul_f32_dpp v129, v248, v129 quad_perm:[1,1,1,1] row_mask:0xf bank_mask:0xf// 00000000EF90: 0B0302FA FF0055F8
	v_mul_f32_dpp v130, v248, v130 quad_perm:[2,2,2,2] row_mask:0xf bank_mask:0xf// 00000000EF98: 0B0504FA FF00AAF8
	v_mul_f32_dpp v131, v248, v131 quad_perm:[3,3,3,3] row_mask:0xf bank_mask:0xf// 00000000EFA0: 0B0706FA FF00FFF8
	v_mul_f32_dpp v132, v249, v132 quad_perm:[0,0,0,0] row_mask:0xf bank_mask:0xf// 00000000EFA8: 0B0908FA FF0000F9
	v_mul_f32_dpp v133, v249, v133 quad_perm:[1,1,1,1] row_mask:0xf bank_mask:0xf// 00000000EFB0: 0B0B0AFA FF0055F9
	v_mul_f32_dpp v134, v249, v134 quad_perm:[2,2,2,2] row_mask:0xf bank_mask:0xf// 00000000EFB8: 0B0D0CFA FF00AAF9
	v_mul_f32_dpp v135, v249, v135 quad_perm:[3,3,3,3] row_mask:0xf bank_mask:0xf// 00000000EFC0: 0B0F0EFA FF00FFF9
	v_mul_f32_dpp v136, v250, v136 quad_perm:[0,0,0,0] row_mask:0xf bank_mask:0xf// 00000000EFC8: 0B1110FA FF0000FA
	v_mul_f32_dpp v137, v250, v137 quad_perm:[1,1,1,1] row_mask:0xf bank_mask:0xf// 00000000EFD0: 0B1312FA FF0055FA
	v_mul_f32_dpp v138, v250, v138 quad_perm:[2,2,2,2] row_mask:0xf bank_mask:0xf// 00000000EFD8: 0B1514FA FF00AAFA
	v_mul_f32_dpp v139, v250, v139 quad_perm:[3,3,3,3] row_mask:0xf bank_mask:0xf// 00000000EFE0: 0B1716FA FF00FFFA
	v_mul_f32_dpp v140, v251, v140 quad_perm:[0,0,0,0] row_mask:0xf bank_mask:0xf// 00000000EFE8: 0B1918FA FF0000FB
	v_mul_f32_dpp v141, v251, v141 quad_perm:[1,1,1,1] row_mask:0xf bank_mask:0xf// 00000000EFF0: 0B1B1AFA FF0055FB
	v_mul_f32_dpp v142, v251, v142 quad_perm:[2,2,2,2] row_mask:0xf bank_mask:0xf// 00000000EFF8: 0B1D1CFA FF00AAFB
	v_mul_f32_dpp v143, v251, v143 quad_perm:[3,3,3,3] row_mask:0xf bank_mask:0xf// 00000000F000: 0B1F1EFA FF00FFFB
	buffer_load_dwordx4 a[20:23], v27, s[16:19], 0 offen offset:1024// 00000000F008: E05C1400 8084141B
	s_cmp_le_i32 s90, s89                                      // 00000000F010: BF05595A
	s_cbranch_scc1 label_33F9                                  // 00000000F014: BF850073
	v_mov_b32_e32 v69, 0xff800000                              // 00000000F018: 7E8A02FF FF800000
	s_mov_b32 s60, s90                                         // 00000000F020: BEBC005A
	s_add_u32 s61, s89, 0xff                                   // 00000000F024: 803DFF59 000000FF
	v_mov_b32_e32 v41, s61                                     // 00000000F02C: 7E52023D
	v_lshrrev_b32_e32 v240, 4, v0                              // 00000000F030: 21E00084
	v_mul_i32_i24_e32 v240, 4, v240                            // 00000000F034: 0DE1E084
	v_add_u32_e32 v240, s60, v240                              // 00000000F038: 69E1E03C
	v_and_b32_e32 v42, 15, v0                                  // 00000000F03C: 2654008F
	v_lshrrev_b32_e32 v42, 3, v42                              // 00000000F040: 20545483
	s_mov_b32 s61, 0                                           // 00000000F044: BEBD0080
	s_mul_i32 s60, 16, s7                                      // 00000000F048: 923C0790
	v_add_u32_e32 v42, s61, v42                                // 00000000F04C: 6854543D
	v_sub_u32_e32 v240, v240, v42                              // 00000000F050: 6BE055F0
	v_add_u32_e32 v240, s60, v240                              // 00000000F054: 69E1E03C
	v_add_u32_e32 v241, 1, v240                                // 00000000F058: 69E3E081
	v_add_u32_e32 v242, 2, v240                                // 00000000F05C: 69E5E082
	v_add_u32_e32 v243, 3, v240                                // 00000000F060: 69E7E083
	v_cmp_le_u32_e64 s[40:41], v240, v41                       // 00000000F064: D0CB0028 000253F0
	v_add_u32_e32 v240, 64, v240                               // 00000000F06C: 69E1E0C0
	s_nop 0                                                    // 00000000F070: BF800000
	v_cndmask_b32_e64 v128, v69, v128, s[40:41]                // 00000000F074: D1000080 00A30145
	v_cmp_le_u32_e64 s[40:41], v241, v41                       // 00000000F07C: D0CB0028 000253F1
	v_add_u32_e32 v241, 64, v241                               // 00000000F084: 69E3E2C0
	s_nop 0                                                    // 00000000F088: BF800000
	v_cndmask_b32_e64 v129, v69, v129, s[40:41]                // 00000000F08C: D1000081 00A30345
	v_cmp_le_u32_e64 s[40:41], v242, v41                       // 00000000F094: D0CB0028 000253F2
	v_add_u32_e32 v242, 64, v242                               // 00000000F09C: 69E5E4C0
	s_nop 0                                                    // 00000000F0A0: BF800000
	v_cndmask_b32_e64 v130, v69, v130, s[40:41]                // 00000000F0A4: D1000082 00A30545
	v_cmp_le_u32_e64 s[40:41], v243, v41                       // 00000000F0AC: D0CB0028 000253F3
	v_add_u32_e32 v243, 64, v243                               // 00000000F0B4: 69E7E6C0
	s_nop 0                                                    // 00000000F0B8: BF800000
	v_cndmask_b32_e64 v131, v69, v131, s[40:41]                // 00000000F0BC: D1000083 00A30745
	v_cmp_le_u32_e64 s[40:41], v240, v41                       // 00000000F0C4: D0CB0028 000253F0
	v_add_u32_e32 v240, 64, v240                               // 00000000F0CC: 69E1E0C0
	s_nop 0                                                    // 00000000F0D0: BF800000
	v_cndmask_b32_e64 v132, v69, v132, s[40:41]                // 00000000F0D4: D1000084 00A30945
	v_cmp_le_u32_e64 s[40:41], v241, v41                       // 00000000F0DC: D0CB0028 000253F1
	v_add_u32_e32 v241, 64, v241                               // 00000000F0E4: 69E3E2C0
	s_nop 0                                                    // 00000000F0E8: BF800000
	v_cndmask_b32_e64 v133, v69, v133, s[40:41]                // 00000000F0EC: D1000085 00A30B45
	v_cmp_le_u32_e64 s[40:41], v242, v41                       // 00000000F0F4: D0CB0028 000253F2
	v_add_u32_e32 v242, 64, v242                               // 00000000F0FC: 69E5E4C0
	s_nop 0                                                    // 00000000F100: BF800000
	v_cndmask_b32_e64 v134, v69, v134, s[40:41]                // 00000000F104: D1000086 00A30D45
	v_cmp_le_u32_e64 s[40:41], v243, v41                       // 00000000F10C: D0CB0028 000253F3
	v_add_u32_e32 v243, 64, v243                               // 00000000F114: 69E7E6C0
	s_nop 0                                                    // 00000000F118: BF800000
	v_cndmask_b32_e64 v135, v69, v135, s[40:41]                // 00000000F11C: D1000087 00A30F45
	v_cmp_le_u32_e64 s[40:41], v240, v41                       // 00000000F124: D0CB0028 000253F0
	v_add_u32_e32 v240, 64, v240                               // 00000000F12C: 69E1E0C0
	s_nop 0                                                    // 00000000F130: BF800000
	v_cndmask_b32_e64 v136, v69, v136, s[40:41]                // 00000000F134: D1000088 00A31145
	v_cmp_le_u32_e64 s[40:41], v241, v41                       // 00000000F13C: D0CB0028 000253F1
	v_add_u32_e32 v241, 64, v241                               // 00000000F144: 69E3E2C0
	s_nop 0                                                    // 00000000F148: BF800000
	v_cndmask_b32_e64 v137, v69, v137, s[40:41]                // 00000000F14C: D1000089 00A31345
	v_cmp_le_u32_e64 s[40:41], v242, v41                       // 00000000F154: D0CB0028 000253F2
	v_add_u32_e32 v242, 64, v242                               // 00000000F15C: 69E5E4C0
	s_nop 0                                                    // 00000000F160: BF800000
	v_cndmask_b32_e64 v138, v69, v138, s[40:41]                // 00000000F164: D100008A 00A31545
	v_cmp_le_u32_e64 s[40:41], v243, v41                       // 00000000F16C: D0CB0028 000253F3
	v_add_u32_e32 v243, 64, v243                               // 00000000F174: 69E7E6C0
	s_nop 0                                                    // 00000000F178: BF800000
	v_cndmask_b32_e64 v139, v69, v139, s[40:41]                // 00000000F17C: D100008B 00A31745
	v_cmp_le_u32_e64 s[40:41], v240, v41                       // 00000000F184: D0CB0028 000253F0
	v_add_u32_e32 v240, 64, v240                               // 00000000F18C: 69E1E0C0
	s_nop 0                                                    // 00000000F190: BF800000
	v_cndmask_b32_e64 v140, v69, v140, s[40:41]                // 00000000F194: D100008C 00A31945
	v_cmp_le_u32_e64 s[40:41], v241, v41                       // 00000000F19C: D0CB0028 000253F1
	v_add_u32_e32 v241, 64, v241                               // 00000000F1A4: 69E3E2C0
	s_nop 0                                                    // 00000000F1A8: BF800000
	v_cndmask_b32_e64 v141, v69, v141, s[40:41]                // 00000000F1AC: D100008D 00A31B45
	v_cmp_le_u32_e64 s[40:41], v242, v41                       // 00000000F1B4: D0CB0028 000253F2
	v_add_u32_e32 v242, 64, v242                               // 00000000F1BC: 69E5E4C0
	s_nop 0                                                    // 00000000F1C0: BF800000
	v_cndmask_b32_e64 v142, v69, v142, s[40:41]                // 00000000F1C4: D100008E 00A31D45
	v_cmp_le_u32_e64 s[40:41], v243, v41                       // 00000000F1CC: D0CB0028 000253F3
	v_add_u32_e32 v243, 64, v243                               // 00000000F1D4: 69E7E6C0
	s_nop 0                                                    // 00000000F1D8: BF800000
	v_cndmask_b32_e64 v143, v69, v143, s[40:41]                // 00000000F1DC: D100008F 00A31F45

000000000000f1e4 <label_33F9>:
	v_mov_b32_e32 v62, v128                                    // 00000000F1E4: 7E7C0380
	v_max3_f32 v62, v128, v129, v62                            // 00000000F1E8: D1D3003E 04FB0380
	v_max3_f32 v62, v130, v131, v62                            // 00000000F1F0: D1D3003E 04FB0782
	v_max3_f32 v62, v132, v133, v62                            // 00000000F1F8: D1D3003E 04FB0B84
	v_max3_f32 v62, v134, v135, v62                            // 00000000F200: D1D3003E 04FB0F86
	v_max3_f32 v62, v136, v137, v62                            // 00000000F208: D1D3003E 04FB1388
	v_max3_f32 v62, v138, v139, v62                            // 00000000F210: D1D3003E 04FB178A
	v_max3_f32 v62, v140, v141, v62                            // 00000000F218: D1D3003E 04FB1B8C
	v_max3_f32 v62, v142, v143, v62                            // 00000000F220: D1D3003E 04FB1F8E
	ds_write_b32 v11, v62 offset:16896                         // 00000000F228: D81A4200 00003E0B
	buffer_load_dwordx4 a[24:27], v28, s[16:19], 0 offen       // 00000000F230: E05C1000 8084181C
	v_mul_u32_u24_dpp v41, v19, v68 row_newbcast:1 row_mask:0xf bank_mask:0xf// 00000000F238: 105288FA FF015113
	v_mul_u32_u24_dpp v42, v19, v68 row_newbcast:5 row_mask:0xf bank_mask:0xf// 00000000F240: 105488FA FF015513
	v_mul_u32_u24_dpp v43, v19, v68 row_newbcast:9 row_mask:0xf bank_mask:0xf// 00000000F248: 105688FA FF015913
	v_mul_u32_u24_dpp v44, v19, v68 row_newbcast:13 row_mask:0xf bank_mask:0xf// 00000000F250: 105888FA FF015D13
	v_add_u32_e32 v33, v41, v7                                 // 00000000F258: 68420F29
	v_add_u32_e32 v34, v42, v7                                 // 00000000F25C: 68440F2A
	v_add_u32_e32 v35, v43, v7                                 // 00000000F260: 68460F2B
	v_add_u32_e32 v36, v44, v7                                 // 00000000F264: 68480F2C
	v_mul_f32_e32 v224, v63, v224                              // 00000000F268: 0BC1C13F
	v_mul_f32_e32 v225, v63, v225                              // 00000000F26C: 0BC3C33F
	v_mul_f32_e32 v226, v63, v226                              // 00000000F270: 0BC5C53F
	v_mul_f32_e32 v227, v63, v227                              // 00000000F274: 0BC7C73F
	v_mul_f32_e32 v228, v63, v228                              // 00000000F278: 0BC9C93F
	v_mul_f32_e32 v229, v63, v229                              // 00000000F27C: 0BCBCB3F
	v_mul_f32_e32 v230, v63, v230                              // 00000000F280: 0BCDCD3F
	v_mul_f32_e32 v231, v63, v231                              // 00000000F284: 0BCFCF3F
	s_waitcnt lgkmcnt(0)                                       // 00000000F288: BF8CC07F
	s_barrier                                                  // 00000000F28C: BF8A0000
	ds_read_b32 v80, v10 offset:16896                          // 00000000F290: D86C4200 5000000A
	ds_read_b32 v81, v10 offset:16960                          // 00000000F298: D86C4240 5100000A
	ds_read_b32 v82, v10 offset:17024                          // 00000000F2A0: D86C4280 5200000A
	ds_read_b32 v83, v10 offset:17088                          // 00000000F2A8: D86C42C0 5300000A
	ds_read_b32 v84, v10 offset:17152                          // 00000000F2B0: D86C4300 5400000A
	ds_read_b32 v85, v10 offset:17216                          // 00000000F2B8: D86C4340 5500000A
	ds_read_b32 v86, v10 offset:17280                          // 00000000F2C0: D86C4380 5600000A
	ds_read_b32 v87, v10 offset:17344                          // 00000000F2C8: D86C43C0 5700000A
	ds_read_b32 v88, v10 offset:17408                          // 00000000F2D0: D86C4400 5800000A
	ds_read_b32 v89, v10 offset:17472                          // 00000000F2D8: D86C4440 5900000A
	ds_read_b32 v90, v10 offset:17536                          // 00000000F2E0: D86C4480 5A00000A
	ds_read_b32 v91, v10 offset:17600                          // 00000000F2E8: D86C44C0 5B00000A
	ds_read_b32 v92, v10 offset:17664                          // 00000000F2F0: D86C4500 5C00000A
	ds_read_b32 v93, v10 offset:17728                          // 00000000F2F8: D86C4540 5D00000A
	ds_read_b32 v94, v10 offset:17792                          // 00000000F300: D86C4580 5E00000A
	ds_read_b32 v95, v10 offset:17856                          // 00000000F308: D86C45C0 5F00000A
	buffer_load_dwordx4 a[28:31], v28, s[16:19], 0 offen offset:1024// 00000000F310: E05C1400 80841C1C
	v_mul_f32_e32 v192, v58, v192                              // 00000000F318: 0B81813A
	v_mul_f32_e32 v193, v58, v193                              // 00000000F31C: 0B83833A
	v_mul_f32_e32 v194, v58, v194                              // 00000000F320: 0B85853A
	v_mul_f32_e32 v195, v58, v195                              // 00000000F324: 0B87873A
	v_mul_f32_e32 v196, v58, v196                              // 00000000F328: 0B89893A
	v_mul_f32_e32 v197, v58, v197                              // 00000000F32C: 0B8B8B3A
	v_mul_f32_e32 v198, v58, v198                              // 00000000F330: 0B8D8D3A
	v_mul_f32_e32 v199, v58, v199                              // 00000000F334: 0B8F8F3A
	s_waitcnt lgkmcnt(0)                                       // 00000000F338: BF8CC07F
	v_max3_f32 v62, v80, v81, v62                              // 00000000F33C: D1D3003E 04FAA350
	v_max3_f32 v62, v82, v83, v62                              // 00000000F344: D1D3003E 04FAA752
	v_max3_f32 v62, v84, v85, v62                              // 00000000F34C: D1D3003E 04FAAB54
	v_max3_f32 v62, v86, v87, v62                              // 00000000F354: D1D3003E 04FAAF56
	v_max3_f32 v62, v88, v89, v62                              // 00000000F35C: D1D3003E 04FAB358
	v_max3_f32 v62, v90, v91, v62                              // 00000000F364: D1D3003E 04FAB75A
	v_max3_f32 v62, v92, v93, v62                              // 00000000F36C: D1D3003E 04FABB5C
	v_max3_f32 v62, v94, v95, v62                              // 00000000F374: D1D3003E 04FABF5E
	buffer_load_dwordx4 a[64:67], v33, s[20:23], 0 offen       // 00000000F37C: E05C1000 80854021
	v_mov_b32_e32 v41, 0xff800000                              // 00000000F384: 7E5202FF FF800000
	v_cmp_eq_u32_e64 s[40:41], v41, v14                        // 00000000F38C: D0CA0028 00021D29
	s_nop 1                                                    // 00000000F394: BF800001
	v_max_f32_e32 v18, v62, v14                                // 00000000F398: 16241D3E
	v_mul_f32_e32 v67, s64, v18                                // 00000000F39C: 0A862440
	v_fma_f32 v128, v128, s64, -v67                            // 00000000F3A0: D1CB0080 850C8180
	v_fma_f32 v129, v129, s64, -v67                            // 00000000F3A8: D1CB0081 850C8181
	v_fma_f32 v130, v130, s64, -v67                            // 00000000F3B0: D1CB0082 850C8182
	v_fma_f32 v131, v131, s64, -v67                            // 00000000F3B8: D1CB0083 850C8183
	v_fma_f32 v132, v132, s64, -v67                            // 00000000F3C0: D1CB0084 850C8184
	v_fma_f32 v133, v133, s64, -v67                            // 00000000F3C8: D1CB0085 850C8185
	v_fma_f32 v134, v134, s64, -v67                            // 00000000F3D0: D1CB0086 850C8186
	v_fma_f32 v135, v135, s64, -v67                            // 00000000F3D8: D1CB0087 850C8187
	v_fma_f32 v136, v136, s64, -v67                            // 00000000F3E0: D1CB0088 850C8188
	v_fma_f32 v137, v137, s64, -v67                            // 00000000F3E8: D1CB0089 850C8189
	v_fma_f32 v138, v138, s64, -v67                            // 00000000F3F0: D1CB008A 850C818A
	v_fma_f32 v139, v139, s64, -v67                            // 00000000F3F8: D1CB008B 850C818B
	v_fma_f32 v140, v140, s64, -v67                            // 00000000F400: D1CB008C 850C818C
	v_fma_f32 v141, v141, s64, -v67                            // 00000000F408: D1CB008D 850C818D
	v_fma_f32 v142, v142, s64, -v67                            // 00000000F410: D1CB008E 850C818E
	v_fma_f32 v143, v143, s64, -v67                            // 00000000F418: D1CB008F 850C818F
	buffer_load_dwordx4 a[68:71], v34, s[20:23], 0 offen       // 00000000F420: E05C1000 80854422
	v_exp_f32_e32 v128, v128                                   // 00000000F428: 7F004180
	v_exp_f32_e32 v129, v129                                   // 00000000F42C: 7F024181
	v_exp_f32_e32 v130, v130                                   // 00000000F430: 7F044182
	v_exp_f32_e32 v131, v131                                   // 00000000F434: 7F064183
	v_exp_f32_e32 v132, v132                                   // 00000000F438: 7F084184
	v_exp_f32_e32 v133, v133                                   // 00000000F43C: 7F0A4185
	v_exp_f32_e32 v134, v134                                   // 00000000F440: 7F0C4186
	v_exp_f32_e32 v135, v135                                   // 00000000F444: 7F0E4187
	v_exp_f32_e32 v136, v136                                   // 00000000F448: 7F104188
	v_exp_f32_e32 v137, v137                                   // 00000000F44C: 7F124189
	v_exp_f32_e32 v138, v138                                   // 00000000F450: 7F14418A
	v_exp_f32_e32 v139, v139                                   // 00000000F454: 7F16418B
	v_exp_f32_e32 v140, v140                                   // 00000000F458: 7F18418C
	v_exp_f32_e32 v141, v141                                   // 00000000F45C: 7F1A418D
	v_exp_f32_e32 v142, v142                                   // 00000000F460: 7F1C418E
	v_exp_f32_e32 v143, v143                                   // 00000000F464: 7F1E418F
	buffer_load_dwordx4 a[72:75], v35, s[20:23], 0 offen       // 00000000F468: E05C1000 80854823
	v_mul_f32_dpp v240, v252, v128 quad_perm:[0,0,0,0] row_mask:0xf bank_mask:0xf// 00000000F470: 0BE100FA FF0000FC
	v_mul_f32_dpp v241, v252, v129 quad_perm:[1,1,1,1] row_mask:0xf bank_mask:0xf// 00000000F478: 0BE302FA FF0055FC
	v_mul_f32_dpp v242, v252, v130 quad_perm:[2,2,2,2] row_mask:0xf bank_mask:0xf// 00000000F480: 0BE504FA FF00AAFC
	v_mul_f32_dpp v243, v252, v131 quad_perm:[3,3,3,3] row_mask:0xf bank_mask:0xf// 00000000F488: 0BE706FA FF00FFFC
	v_mul_f32_dpp v244, v253, v132 quad_perm:[0,0,0,0] row_mask:0xf bank_mask:0xf// 00000000F490: 0BE908FA FF0000FD
	v_mul_f32_dpp v245, v253, v133 quad_perm:[1,1,1,1] row_mask:0xf bank_mask:0xf// 00000000F498: 0BEB0AFA FF0055FD
	v_mul_f32_dpp v246, v253, v134 quad_perm:[2,2,2,2] row_mask:0xf bank_mask:0xf// 00000000F4A0: 0BED0CFA FF00AAFD
	v_mul_f32_dpp v247, v253, v135 quad_perm:[3,3,3,3] row_mask:0xf bank_mask:0xf// 00000000F4A8: 0BEF0EFA FF00FFFD
	v_mul_f32_dpp v248, v254, v136 quad_perm:[0,0,0,0] row_mask:0xf bank_mask:0xf// 00000000F4B0: 0BF110FA FF0000FE
	v_mul_f32_dpp v249, v254, v137 quad_perm:[1,1,1,1] row_mask:0xf bank_mask:0xf// 00000000F4B8: 0BF312FA FF0055FE
	v_mul_f32_dpp v250, v254, v138 quad_perm:[2,2,2,2] row_mask:0xf bank_mask:0xf// 00000000F4C0: 0BF514FA FF00AAFE
	v_mul_f32_dpp v251, v254, v139 quad_perm:[3,3,3,3] row_mask:0xf bank_mask:0xf// 00000000F4C8: 0BF716FA FF00FFFE
	v_mul_f32_dpp v252, v255, v140 quad_perm:[0,0,0,0] row_mask:0xf bank_mask:0xf// 00000000F4D0: 0BF918FA FF0000FF
	v_mul_f32_dpp v253, v255, v141 quad_perm:[1,1,1,1] row_mask:0xf bank_mask:0xf// 00000000F4D8: 0BFB1AFA FF0055FF
	v_mul_f32_dpp v254, v255, v142 quad_perm:[2,2,2,2] row_mask:0xf bank_mask:0xf// 00000000F4E0: 0BFD1CFA FF00AAFF
	v_mul_f32_dpp v255, v255, v143 quad_perm:[3,3,3,3] row_mask:0xf bank_mask:0xf// 00000000F4E8: 0BFF1EFA FF00FFFF
	v_mov_b32_e32 v62, 0x358637bd                              // 00000000F4F0: 7E7C02FF 358637BD
	v_max3_f32 v62, |v240|, |v241|, v62                        // 00000000F4F8: D1D3033E 04FBE3F0
	v_max3_f32 v62, |v242|, |v243|, v62                        // 00000000F500: D1D3033E 04FBE7F2
	v_max3_f32 v62, |v244|, |v245|, v62                        // 00000000F508: D1D3033E 04FBEBF4
	v_max3_f32 v62, |v246|, |v247|, v62                        // 00000000F510: D1D3033E 04FBEFF6
	v_max3_f32 v62, |v248|, |v249|, v62                        // 00000000F518: D1D3033E 04FBF3F8
	v_max3_f32 v62, |v250|, |v251|, v62                        // 00000000F520: D1D3033E 04FBF7FA
	v_max3_f32 v62, |v252|, |v253|, v62                        // 00000000F528: D1D3033E 04FBFBFC
	v_max3_f32 v62, |v254|, |v255|, v62                        // 00000000F530: D1D3033E 04FBFFFE
	buffer_load_dwordx4 a[76:79], v36, s[20:23], 0 offen       // 00000000F538: E05C1000 80854C24
	ds_write_b32 v11, v62 offset:20992                         // 00000000F540: D81A5200 00003E0B
	v_sub_f32_e32 v63, v14, v18                                // 00000000F548: 047E250E
	v_cndmask_b32_e64 v63, v63, 0, s[40:41]                    // 00000000F54C: D100003F 00A1013F
	v_mov_b32_e32 v14, v18                                     // 00000000F554: 7E1C0312
	v_mul_f32_e32 v63, s64, v63                                // 00000000F558: 0A7E7E40
	v_exp_f32_e32 v63, v63                                     // 00000000F55C: 7E7E413F
	s_waitcnt lgkmcnt(0)                                       // 00000000F560: BF8CC07F
	s_barrier                                                  // 00000000F564: BF8A0000
	ds_read_b32 v80, v10 offset:20992                          // 00000000F568: D86C5200 5000000A
	ds_read_b32 v81, v10 offset:21056                          // 00000000F570: D86C5240 5100000A
	ds_read_b32 v82, v10 offset:21120                          // 00000000F578: D86C5280 5200000A
	ds_read_b32 v83, v10 offset:21184                          // 00000000F580: D86C52C0 5300000A
	ds_read_b32 v84, v10 offset:21248                          // 00000000F588: D86C5300 5400000A
	ds_read_b32 v85, v10 offset:21312                          // 00000000F590: D86C5340 5500000A
	ds_read_b32 v86, v10 offset:21376                          // 00000000F598: D86C5380 5600000A
	ds_read_b32 v87, v10 offset:21440                          // 00000000F5A0: D86C53C0 5700000A
	ds_read_b32 v88, v10 offset:21504                          // 00000000F5A8: D86C5400 5800000A
	ds_read_b32 v89, v10 offset:21568                          // 00000000F5B0: D86C5440 5900000A
	ds_read_b32 v90, v10 offset:21632                          // 00000000F5B8: D86C5480 5A00000A
	ds_read_b32 v91, v10 offset:21696                          // 00000000F5C0: D86C54C0 5B00000A
	ds_read_b32 v92, v10 offset:21760                          // 00000000F5C8: D86C5500 5C00000A
	ds_read_b32 v93, v10 offset:21824                          // 00000000F5D0: D86C5540 5D00000A
	ds_read_b32 v94, v10 offset:21888                          // 00000000F5D8: D86C5580 5E00000A
	ds_read_b32 v95, v10 offset:21952                          // 00000000F5E0: D86C55C0 5F00000A
	v_mul_f32_e32 v47, v63, v47                                // 00000000F5E8: 0A5E5F3F
	v_mov_b32_e32 v18, v128                                    // 00000000F5EC: 7E240380
	v_add_f32_e32 v18, v129, v18                               // 00000000F5F0: 02242581
	v_add_f32_e32 v18, v130, v18                               // 00000000F5F4: 02242582
	v_add_f32_e32 v18, v131, v18                               // 00000000F5F8: 02242583
	v_add_f32_e32 v18, v132, v18                               // 00000000F5FC: 02242584
	v_add_f32_e32 v18, v133, v18                               // 00000000F600: 02242585
	v_add_f32_e32 v18, v134, v18                               // 00000000F604: 02242586
	v_add_f32_e32 v18, v135, v18                               // 00000000F608: 02242587
	v_add_f32_e32 v18, v136, v18                               // 00000000F60C: 02242588
	v_add_f32_e32 v18, v137, v18                               // 00000000F610: 02242589
	v_add_f32_e32 v18, v138, v18                               // 00000000F614: 0224258A
	v_add_f32_e32 v18, v139, v18                               // 00000000F618: 0224258B
	v_add_f32_e32 v18, v140, v18                               // 00000000F61C: 0224258C
	v_add_f32_e32 v18, v141, v18                               // 00000000F620: 0224258D
	v_add_f32_e32 v18, v142, v18                               // 00000000F624: 0224258E
	v_add_f32_e32 v18, v143, v18                               // 00000000F628: 0224258F
	v_add_f32_e32 v47, v18, v47                                // 00000000F62C: 025E5F12
	s_waitcnt lgkmcnt(0)                                       // 00000000F630: BF8CC07F
	v_max3_f32 v62, |v80|, |v81|, v62                          // 00000000F634: D1D3033E 04FAA350
	v_max3_f32 v62, |v82|, |v83|, v62                          // 00000000F63C: D1D3033E 04FAA752
	v_max3_f32 v62, |v84|, |v85|, v62                          // 00000000F644: D1D3033E 04FAAB54
	v_max3_f32 v62, |v86|, |v87|, v62                          // 00000000F64C: D1D3033E 04FAAF56
	v_max3_f32 v62, |v88|, |v89|, v62                          // 00000000F654: D1D3033E 04FAB358
	v_max3_f32 v62, |v90|, |v91|, v62                          // 00000000F65C: D1D3033E 04FAB75A
	v_max3_f32 v62, |v92|, |v93|, v62                          // 00000000F664: D1D3033E 04FABB5C
	v_max3_f32 v62, |v94|, |v95|, v62                          // 00000000F66C: D1D3033E 04FABF5E
	s_nop 2                                                    // 00000000F674: BF800002
	v_rcp_f32_e32 v62, v62                                     // 00000000F678: 7E7C453E
	s_nop 1                                                    // 00000000F67C: BF800001
	v_mul_f32_e32 v62, 0x43e00000, v62                         // 00000000F680: 0A7C7CFF 43E00000
	v_mul_f32_e32 v128, v62, v240                              // 00000000F688: 0B01E13E
	v_mul_f32_e32 v129, v62, v241                              // 00000000F68C: 0B03E33E
	v_mul_f32_e32 v130, v62, v242                              // 00000000F690: 0B05E53E
	v_mul_f32_e32 v131, v62, v243                              // 00000000F694: 0B07E73E
	v_mul_f32_e32 v132, v62, v244                              // 00000000F698: 0B09E93E
	v_mul_f32_e32 v133, v62, v245                              // 00000000F69C: 0B0BEB3E
	v_mul_f32_e32 v134, v62, v246                              // 00000000F6A0: 0B0DED3E
	v_mul_f32_e32 v135, v62, v247                              // 00000000F6A4: 0B0FEF3E
	v_mul_f32_e32 v136, v62, v248                              // 00000000F6A8: 0B11F13E
	v_mul_f32_e32 v137, v62, v249                              // 00000000F6AC: 0B13F33E
	v_mul_f32_e32 v138, v62, v250                              // 00000000F6B0: 0B15F53E
	v_mul_f32_e32 v139, v62, v251                              // 00000000F6B4: 0B17F73E
	v_mul_f32_e32 v140, v62, v252                              // 00000000F6B8: 0B19F93E
	v_mul_f32_e32 v141, v62, v253                              // 00000000F6BC: 0B1BFB3E
	v_mul_f32_e32 v142, v62, v254                              // 00000000F6C0: 0B1DFD3E
	v_mul_f32_e32 v143, v62, v255                              // 00000000F6C4: 0B1FFF3E
	v_cvt_pk_fp8_f32 v128, v128, v129                          // 00000000F6C8: D2A20080 00030380
	v_cvt_pk_fp8_f32 v128, v130, v131 op_sel:[0,0,1]           // 00000000F6D0: D2A24080 00030782
	v_cvt_pk_fp8_f32 v129, v132, v133                          // 00000000F6D8: D2A20081 00030B84
	v_cvt_pk_fp8_f32 v129, v134, v135 op_sel:[0,0,1]           // 00000000F6E0: D2A24081 00030F86
	v_cvt_pk_fp8_f32 v130, v136, v137                          // 00000000F6E8: D2A20082 00031388
	v_cvt_pk_fp8_f32 v130, v138, v139 op_sel:[0,0,1]           // 00000000F6F0: D2A24082 0003178A
	v_cvt_pk_fp8_f32 v131, v140, v141                          // 00000000F6F8: D2A20083 00031B8C
	v_cvt_pk_fp8_f32 v131, v142, v143 op_sel:[0,0,1]           // 00000000F700: D2A24083 00031F8E
	ds_write_b32 v13, v128 offset:25088                        // 00000000F708: D81A6200 0000800D
	ds_write_b32 v13, v129 offset:26112                        // 00000000F710: D81A6600 0000810D
	ds_write_b32 v13, v130 offset:27136                        // 00000000F718: D81A6A00 0000820D
	ds_write_b32 v13, v131 offset:28160                        // 00000000F720: D81A6E00 0000830D
	v_add_f32_e32 v224, v224, v192                             // 00000000F728: 03C181E0
	v_add_f32_e32 v225, v225, v193                             // 00000000F72C: 03C383E1
	v_add_f32_e32 v226, v226, v194                             // 00000000F730: 03C585E2
	v_add_f32_e32 v227, v227, v195                             // 00000000F734: 03C787E3
	v_add_f32_e32 v228, v228, v196                             // 00000000F738: 03C989E4
	v_add_f32_e32 v229, v229, v197                             // 00000000F73C: 03CB8BE5
	v_add_f32_e32 v230, v230, v198                             // 00000000F740: 03CD8DE6
	v_add_f32_e32 v231, v231, v199                             // 00000000F744: 03CF8FE7
	v_rcp_f32_e32 v58, v62                                     // 00000000F748: 7E74453E
	s_waitcnt lgkmcnt(0)                                       // 00000000F74C: BF8CC07F
	s_barrier                                                  // 00000000F750: BF8A0000
	ds_read_b64 v[128:129], v12 offset:25088                   // 00000000F754: D8EC6200 8000000C
	ds_read_b64 v[130:131], v12 offset:25216                   // 00000000F75C: D8EC6280 8200000C
	ds_read_b64 v[132:133], v12 offset:26112                   // 00000000F764: D8EC6600 8400000C
	ds_read_b64 v[134:135], v12 offset:26240                   // 00000000F76C: D8EC6680 8600000C
	ds_read_b64 v[136:137], v12 offset:27136                   // 00000000F774: D8EC6A00 8800000C
	ds_read_b64 v[138:139], v12 offset:27264                   // 00000000F77C: D8EC6A80 8A00000C
	ds_read_b64 v[140:141], v12 offset:28160                   // 00000000F784: D8EC6E00 8C00000C
	ds_read_b64 v[142:143], v12 offset:28288                   // 00000000F78C: D8EC6E80 8E00000C
	v_mov_b32_dpp v41, v53 row_shr:4 row_mask:0xf bank_mask:0xf// 00000000F794: 7E5202FA FF011435
	v_mov_b32_dpp v42, v53 row_shl:4 row_mask:0xf bank_mask:0xf// 00000000F79C: 7E5402FA FF010435
	v_cndmask_b32_e64 v248, v53, v41, s[44:45]                 // 00000000F7A4: D10000F8 00B25335
	v_cndmask_b32_e64 v249, v42, v53, s[44:45]                 // 00000000F7AC: D10000F9 00B26B2A
	v_mov_b32_dpp v41, v248 row_shr:8 row_mask:0xf bank_mask:0xf// 00000000F7B4: 7E5202FA FF0118F8
	v_mov_b32_dpp v42, v248 row_shl:8 row_mask:0xf bank_mask:0xf// 00000000F7BC: 7E5402FA FF0108F8
	v_mov_b32_dpp v43, v249 row_shr:8 row_mask:0xf bank_mask:0xf// 00000000F7C4: 7E5602FA FF0118F9
	v_mov_b32_dpp v44, v249 row_shl:8 row_mask:0xf bank_mask:0xf// 00000000F7CC: 7E5802FA FF0108F9
	v_mov_b32_e32 v45, v248                                    // 00000000F7D4: 7E5A03F8
	v_mov_b32_e32 v46, v249                                    // 00000000F7D8: 7E5C03F9
	v_cndmask_b32_e64 v248, v45, v41, s[42:43]                 // 00000000F7DC: D10000F8 00AA532D
	v_cndmask_b32_e64 v250, v45, v42, s[78:79]                 // 00000000F7E4: D10000FA 013A552D
	v_cndmask_b32_e64 v249, v46, v43, s[42:43]                 // 00000000F7EC: D10000F9 00AA572E
	v_cndmask_b32_e64 v251, v46, v44, s[78:79]                 // 00000000F7F4: D10000FB 013A592E
	v_mov_b32_dpp v41, v73 row_shr:4 row_mask:0xf bank_mask:0xf// 00000000F7FC: 7E5202FA FF011449
	v_mov_b32_dpp v42, v73 row_shl:4 row_mask:0xf bank_mask:0xf// 00000000F804: 7E5402FA FF010449
	v_cndmask_b32_e64 v252, v73, v41, s[44:45]                 // 00000000F80C: D10000FC 00B25349
	v_cndmask_b32_e64 v253, v42, v73, s[44:45]                 // 00000000F814: D10000FD 00B2932A
	v_mov_b32_dpp v41, v252 row_shr:8 row_mask:0xf bank_mask:0xf// 00000000F81C: 7E5202FA FF0118FC
	v_mov_b32_dpp v42, v252 row_shl:8 row_mask:0xf bank_mask:0xf// 00000000F824: 7E5402FA FF0108FC
	v_mov_b32_dpp v43, v253 row_shr:8 row_mask:0xf bank_mask:0xf// 00000000F82C: 7E5602FA FF0118FD
	v_mov_b32_dpp v44, v253 row_shl:8 row_mask:0xf bank_mask:0xf// 00000000F834: 7E5802FA FF0108FD
	v_mov_b32_e32 v45, v252                                    // 00000000F83C: 7E5A03FC
	v_mov_b32_e32 v46, v253                                    // 00000000F840: 7E5C03FD
	v_cndmask_b32_e64 v252, v45, v41, s[42:43]                 // 00000000F844: D10000FC 00AA532D
	v_cndmask_b32_e64 v254, v45, v42, s[78:79]                 // 00000000F84C: D10000FE 013A552D
	v_cndmask_b32_e64 v253, v46, v43, s[42:43]                 // 00000000F854: D10000FD 00AA572E
	v_cndmask_b32_e64 v255, v46, v44, s[78:79]                 // 00000000F85C: D10000FF 013A592E
	v_mul_f32_e32 v144, v55, v144                              // 00000000F864: 0B212137
	v_mul_f32_e32 v145, v55, v145                              // 00000000F868: 0B232337
	v_mul_f32_e32 v146, v55, v146                              // 00000000F86C: 0B252537
	v_mul_f32_e32 v147, v55, v147                              // 00000000F870: 0B272737
	v_mul_f32_e32 v148, v55, v148                              // 00000000F874: 0B292937
	v_mul_f32_e32 v149, v55, v149                              // 00000000F878: 0B2B2B37
	v_mul_f32_e32 v150, v55, v150                              // 00000000F87C: 0B2D2D37
	v_mul_f32_e32 v151, v55, v151                              // 00000000F880: 0B2F2F37
	v_mul_f32_e32 v152, v55, v152                              // 00000000F884: 0B313137
	v_mul_f32_e32 v153, v55, v153                              // 00000000F888: 0B333337
	v_mul_f32_e32 v154, v55, v154                              // 00000000F88C: 0B353537
	v_mul_f32_e32 v155, v55, v155                              // 00000000F890: 0B373737
	v_mul_f32_e32 v156, v55, v156                              // 00000000F894: 0B393937
	v_mul_f32_e32 v157, v55, v157                              // 00000000F898: 0B3B3B37
	v_mul_f32_e32 v158, v55, v158                              // 00000000F89C: 0B3D3D37
	v_mul_f32_e32 v159, v55, v159                              // 00000000F8A0: 0B3F3F37
	v_mul_f32_dpp v144, v248, v144 quad_perm:[0,0,0,0] row_mask:0xf bank_mask:0xf// 00000000F8A4: 0B2120FA FF0000F8
	v_mul_f32_dpp v145, v248, v145 quad_perm:[1,1,1,1] row_mask:0xf bank_mask:0xf// 00000000F8AC: 0B2322FA FF0055F8
	v_mul_f32_dpp v146, v248, v146 quad_perm:[2,2,2,2] row_mask:0xf bank_mask:0xf// 00000000F8B4: 0B2524FA FF00AAF8
	v_mul_f32_dpp v147, v248, v147 quad_perm:[3,3,3,3] row_mask:0xf bank_mask:0xf// 00000000F8BC: 0B2726FA FF00FFF8
	v_mul_f32_dpp v148, v249, v148 quad_perm:[0,0,0,0] row_mask:0xf bank_mask:0xf// 00000000F8C4: 0B2928FA FF0000F9
	v_mul_f32_dpp v149, v249, v149 quad_perm:[1,1,1,1] row_mask:0xf bank_mask:0xf// 00000000F8CC: 0B2B2AFA FF0055F9
	v_mul_f32_dpp v150, v249, v150 quad_perm:[2,2,2,2] row_mask:0xf bank_mask:0xf// 00000000F8D4: 0B2D2CFA FF00AAF9
	v_mul_f32_dpp v151, v249, v151 quad_perm:[3,3,3,3] row_mask:0xf bank_mask:0xf// 00000000F8DC: 0B2F2EFA FF00FFF9
	v_mul_f32_dpp v152, v250, v152 quad_perm:[0,0,0,0] row_mask:0xf bank_mask:0xf// 00000000F8E4: 0B3130FA FF0000FA
	v_mul_f32_dpp v153, v250, v153 quad_perm:[1,1,1,1] row_mask:0xf bank_mask:0xf// 00000000F8EC: 0B3332FA FF0055FA
	v_mul_f32_dpp v154, v250, v154 quad_perm:[2,2,2,2] row_mask:0xf bank_mask:0xf// 00000000F8F4: 0B3534FA FF00AAFA
	v_mul_f32_dpp v155, v250, v155 quad_perm:[3,3,3,3] row_mask:0xf bank_mask:0xf// 00000000F8FC: 0B3736FA FF00FFFA
	v_mul_f32_dpp v156, v251, v156 quad_perm:[0,0,0,0] row_mask:0xf bank_mask:0xf// 00000000F904: 0B3938FA FF0000FB
	v_mul_f32_dpp v157, v251, v157 quad_perm:[1,1,1,1] row_mask:0xf bank_mask:0xf// 00000000F90C: 0B3B3AFA FF0055FB
	v_mul_f32_dpp v158, v251, v158 quad_perm:[2,2,2,2] row_mask:0xf bank_mask:0xf// 00000000F914: 0B3D3CFA FF00AAFB
	v_mul_f32_dpp v159, v251, v159 quad_perm:[3,3,3,3] row_mask:0xf bank_mask:0xf// 00000000F91C: 0B3F3EFA FF00FFFB
	s_cmp_le_i32 s90, s89                                      // 00000000F924: BF05595A
	s_cbranch_scc1 label_363E                                  // 00000000F928: BF850073
	v_mov_b32_e32 v69, 0xff800000                              // 00000000F92C: 7E8A02FF FF800000
	s_mov_b32 s60, s90                                         // 00000000F934: BEBC005A
	s_add_u32 s61, s89, 0xff                                   // 00000000F938: 803DFF59 000000FF
	v_mov_b32_e32 v41, s61                                     // 00000000F940: 7E52023D
	v_lshrrev_b32_e32 v240, 4, v0                              // 00000000F944: 21E00084
	v_mul_i32_i24_e32 v240, 4, v240                            // 00000000F948: 0DE1E084
	v_add_u32_e32 v240, s60, v240                              // 00000000F94C: 69E1E03C
	v_and_b32_e32 v42, 15, v0                                  // 00000000F950: 2654008F
	v_lshrrev_b32_e32 v42, 3, v42                              // 00000000F954: 20545483
	s_mov_b32 s61, 2                                           // 00000000F958: BEBD0082
	s_mul_i32 s60, 16, s7                                      // 00000000F95C: 923C0790
	v_add_u32_e32 v42, s61, v42                                // 00000000F960: 6854543D
	v_sub_u32_e32 v240, v240, v42                              // 00000000F964: 6BE055F0
	v_add_u32_e32 v240, s60, v240                              // 00000000F968: 69E1E03C
	v_add_u32_e32 v241, 1, v240                                // 00000000F96C: 69E3E081
	v_add_u32_e32 v242, 2, v240                                // 00000000F970: 69E5E082
	v_add_u32_e32 v243, 3, v240                                // 00000000F974: 69E7E083
	v_cmp_le_u32_e64 s[40:41], v240, v41                       // 00000000F978: D0CB0028 000253F0
	v_add_u32_e32 v240, 64, v240                               // 00000000F980: 69E1E0C0
	s_nop 0                                                    // 00000000F984: BF800000
	v_cndmask_b32_e64 v144, v69, v144, s[40:41]                // 00000000F988: D1000090 00A32145
	v_cmp_le_u32_e64 s[40:41], v241, v41                       // 00000000F990: D0CB0028 000253F1
	v_add_u32_e32 v241, 64, v241                               // 00000000F998: 69E3E2C0
	s_nop 0                                                    // 00000000F99C: BF800000
	v_cndmask_b32_e64 v145, v69, v145, s[40:41]                // 00000000F9A0: D1000091 00A32345
	v_cmp_le_u32_e64 s[40:41], v242, v41                       // 00000000F9A8: D0CB0028 000253F2
	v_add_u32_e32 v242, 64, v242                               // 00000000F9B0: 69E5E4C0
	s_nop 0                                                    // 00000000F9B4: BF800000
	v_cndmask_b32_e64 v146, v69, v146, s[40:41]                // 00000000F9B8: D1000092 00A32545
	v_cmp_le_u32_e64 s[40:41], v243, v41                       // 00000000F9C0: D0CB0028 000253F3
	v_add_u32_e32 v243, 64, v243                               // 00000000F9C8: 69E7E6C0
	s_nop 0                                                    // 00000000F9CC: BF800000
	v_cndmask_b32_e64 v147, v69, v147, s[40:41]                // 00000000F9D0: D1000093 00A32745
	v_cmp_le_u32_e64 s[40:41], v240, v41                       // 00000000F9D8: D0CB0028 000253F0
	v_add_u32_e32 v240, 64, v240                               // 00000000F9E0: 69E1E0C0
	s_nop 0                                                    // 00000000F9E4: BF800000
	v_cndmask_b32_e64 v148, v69, v148, s[40:41]                // 00000000F9E8: D1000094 00A32945
	v_cmp_le_u32_e64 s[40:41], v241, v41                       // 00000000F9F0: D0CB0028 000253F1
	v_add_u32_e32 v241, 64, v241                               // 00000000F9F8: 69E3E2C0
	s_nop 0                                                    // 00000000F9FC: BF800000
	v_cndmask_b32_e64 v149, v69, v149, s[40:41]                // 00000000FA00: D1000095 00A32B45
	v_cmp_le_u32_e64 s[40:41], v242, v41                       // 00000000FA08: D0CB0028 000253F2
	v_add_u32_e32 v242, 64, v242                               // 00000000FA10: 69E5E4C0
	s_nop 0                                                    // 00000000FA14: BF800000
	v_cndmask_b32_e64 v150, v69, v150, s[40:41]                // 00000000FA18: D1000096 00A32D45
	v_cmp_le_u32_e64 s[40:41], v243, v41                       // 00000000FA20: D0CB0028 000253F3
	v_add_u32_e32 v243, 64, v243                               // 00000000FA28: 69E7E6C0
	s_nop 0                                                    // 00000000FA2C: BF800000
	v_cndmask_b32_e64 v151, v69, v151, s[40:41]                // 00000000FA30: D1000097 00A32F45
	v_cmp_le_u32_e64 s[40:41], v240, v41                       // 00000000FA38: D0CB0028 000253F0
	v_add_u32_e32 v240, 64, v240                               // 00000000FA40: 69E1E0C0
	s_nop 0                                                    // 00000000FA44: BF800000
	v_cndmask_b32_e64 v152, v69, v152, s[40:41]                // 00000000FA48: D1000098 00A33145
	v_cmp_le_u32_e64 s[40:41], v241, v41                       // 00000000FA50: D0CB0028 000253F1
	v_add_u32_e32 v241, 64, v241                               // 00000000FA58: 69E3E2C0
	s_nop 0                                                    // 00000000FA5C: BF800000
	v_cndmask_b32_e64 v153, v69, v153, s[40:41]                // 00000000FA60: D1000099 00A33345
	v_cmp_le_u32_e64 s[40:41], v242, v41                       // 00000000FA68: D0CB0028 000253F2
	v_add_u32_e32 v242, 64, v242                               // 00000000FA70: 69E5E4C0
	s_nop 0                                                    // 00000000FA74: BF800000
	v_cndmask_b32_e64 v154, v69, v154, s[40:41]                // 00000000FA78: D100009A 00A33545
	v_cmp_le_u32_e64 s[40:41], v243, v41                       // 00000000FA80: D0CB0028 000253F3
	v_add_u32_e32 v243, 64, v243                               // 00000000FA88: 69E7E6C0
	s_nop 0                                                    // 00000000FA8C: BF800000
	v_cndmask_b32_e64 v155, v69, v155, s[40:41]                // 00000000FA90: D100009B 00A33745
	v_cmp_le_u32_e64 s[40:41], v240, v41                       // 00000000FA98: D0CB0028 000253F0
	v_add_u32_e32 v240, 64, v240                               // 00000000FAA0: 69E1E0C0
	s_nop 0                                                    // 00000000FAA4: BF800000
	v_cndmask_b32_e64 v156, v69, v156, s[40:41]                // 00000000FAA8: D100009C 00A33945
	v_cmp_le_u32_e64 s[40:41], v241, v41                       // 00000000FAB0: D0CB0028 000253F1
	v_add_u32_e32 v241, 64, v241                               // 00000000FAB8: 69E3E2C0
	s_nop 0                                                    // 00000000FABC: BF800000
	v_cndmask_b32_e64 v157, v69, v157, s[40:41]                // 00000000FAC0: D100009D 00A33B45
	v_cmp_le_u32_e64 s[40:41], v242, v41                       // 00000000FAC8: D0CB0028 000253F2
	v_add_u32_e32 v242, 64, v242                               // 00000000FAD0: 69E5E4C0
	s_nop 0                                                    // 00000000FAD4: BF800000
	v_cndmask_b32_e64 v158, v69, v158, s[40:41]                // 00000000FAD8: D100009E 00A33D45
	v_cmp_le_u32_e64 s[40:41], v243, v41                       // 00000000FAE0: D0CB0028 000253F3
	v_add_u32_e32 v243, 64, v243                               // 00000000FAE8: 69E7E6C0
	s_nop 0                                                    // 00000000FAEC: BF800000
	v_cndmask_b32_e64 v159, v69, v159, s[40:41]                // 00000000FAF0: D100009F 00A33F45

000000000000faf8 <label_363E>:
	s_add_u32 s90, s91, s90                                    // 00000000FAF8: 805A5A5B
	v_mov_b32_e32 v62, v144                                    // 00000000FAFC: 7E7C0390
	v_max3_f32 v62, v144, v145, v62                            // 00000000FB00: D1D3003E 04FB2390
	v_max3_f32 v62, v146, v147, v62                            // 00000000FB08: D1D3003E 04FB2792
	v_max3_f32 v62, v148, v149, v62                            // 00000000FB10: D1D3003E 04FB2B94
	v_max3_f32 v62, v150, v151, v62                            // 00000000FB18: D1D3003E 04FB2F96
	v_max3_f32 v62, v152, v153, v62                            // 00000000FB20: D1D3003E 04FB3398
	v_max3_f32 v62, v154, v155, v62                            // 00000000FB28: D1D3003E 04FB379A
	v_max3_f32 v62, v156, v157, v62                            // 00000000FB30: D1D3003E 04FB3B9C
	v_max3_f32 v62, v158, v159, v62                            // 00000000FB38: D1D3003E 04FB3F9E
	ds_write_b32 v11, v62 offset:16896                         // 00000000FB40: D81A4200 00003E0B
	v_mul_f32_e32 v232, v64, v232                              // 00000000FB48: 0BD1D140
	v_mul_f32_e32 v233, v64, v233                              // 00000000FB4C: 0BD3D340
	v_mul_f32_e32 v234, v64, v234                              // 00000000FB50: 0BD5D540
	v_mul_f32_e32 v235, v64, v235                              // 00000000FB54: 0BD7D740
	v_mul_f32_e32 v236, v64, v236                              // 00000000FB58: 0BD9D940
	v_mul_f32_e32 v237, v64, v237                              // 00000000FB5C: 0BDBDB40
	v_mul_f32_e32 v238, v64, v238                              // 00000000FB60: 0BDDDD40
	v_mul_f32_e32 v239, v64, v239                              // 00000000FB64: 0BDFDF40
	s_waitcnt lgkmcnt(0)                                       // 00000000FB68: BF8CC07F
	s_barrier                                                  // 00000000FB6C: BF8A0000
	ds_read_b32 v80, v10 offset:16896                          // 00000000FB70: D86C4200 5000000A
	ds_read_b32 v81, v10 offset:16960                          // 00000000FB78: D86C4240 5100000A
	ds_read_b32 v82, v10 offset:17024                          // 00000000FB80: D86C4280 5200000A
	ds_read_b32 v83, v10 offset:17088                          // 00000000FB88: D86C42C0 5300000A
	ds_read_b32 v84, v10 offset:17152                          // 00000000FB90: D86C4300 5400000A
	ds_read_b32 v85, v10 offset:17216                          // 00000000FB98: D86C4340 5500000A
	ds_read_b32 v86, v10 offset:17280                          // 00000000FBA0: D86C4380 5600000A
	ds_read_b32 v87, v10 offset:17344                          // 00000000FBA8: D86C43C0 5700000A
	ds_read_b32 v88, v10 offset:17408                          // 00000000FBB0: D86C4400 5800000A
	ds_read_b32 v89, v10 offset:17472                          // 00000000FBB8: D86C4440 5900000A
	ds_read_b32 v90, v10 offset:17536                          // 00000000FBC0: D86C4480 5A00000A
	ds_read_b32 v91, v10 offset:17600                          // 00000000FBC8: D86C44C0 5B00000A
	ds_read_b32 v92, v10 offset:17664                          // 00000000FBD0: D86C4500 5C00000A
	ds_read_b32 v93, v10 offset:17728                          // 00000000FBD8: D86C4540 5D00000A
	ds_read_b32 v94, v10 offset:17792                          // 00000000FBE0: D86C4580 5E00000A
	ds_read_b32 v95, v10 offset:17856                          // 00000000FBE8: D86C45C0 5F00000A
	v_mul_f32_e32 v200, v59, v200                              // 00000000FBF0: 0B91913B
	v_mul_f32_e32 v201, v59, v201                              // 00000000FBF4: 0B93933B
	v_mul_f32_e32 v202, v59, v202                              // 00000000FBF8: 0B95953B
	v_mul_f32_e32 v203, v59, v203                              // 00000000FBFC: 0B97973B
	v_mul_f32_e32 v204, v59, v204                              // 00000000FC00: 0B99993B
	v_mul_f32_e32 v205, v59, v205                              // 00000000FC04: 0B9B9B3B
	v_mul_f32_e32 v206, v59, v206                              // 00000000FC08: 0B9D9D3B
	v_mul_f32_e32 v207, v59, v207                              // 00000000FC0C: 0B9F9F3B
	s_waitcnt lgkmcnt(0)                                       // 00000000FC10: BF8CC07F
	v_max3_f32 v62, v80, v81, v62                              // 00000000FC14: D1D3003E 04FAA350
	v_max3_f32 v62, v82, v83, v62                              // 00000000FC1C: D1D3003E 04FAA752
	v_max3_f32 v62, v84, v85, v62                              // 00000000FC24: D1D3003E 04FAAB54
	v_max3_f32 v62, v86, v87, v62                              // 00000000FC2C: D1D3003E 04FAAF56
	v_max3_f32 v62, v88, v89, v62                              // 00000000FC34: D1D3003E 04FAB358
	v_max3_f32 v62, v90, v91, v62                              // 00000000FC3C: D1D3003E 04FAB75A
	v_max3_f32 v62, v92, v93, v62                              // 00000000FC44: D1D3003E 04FABB5C
	v_max3_f32 v62, v94, v95, v62                              // 00000000FC4C: D1D3003E 04FABF5E
	v_mov_b32_e32 v41, 0xff800000                              // 00000000FC54: 7E5202FF FF800000
	v_cmp_eq_u32_e64 s[40:41], v41, v15                        // 00000000FC5C: D0CA0028 00021F29
	s_nop 1                                                    // 00000000FC64: BF800001
	v_max_f32_e32 v18, v62, v15                                // 00000000FC68: 16241F3E
	v_mul_f32_e32 v67, s64, v18                                // 00000000FC6C: 0A862440
	v_fma_f32 v144, v144, s64, -v67                            // 00000000FC70: D1CB0090 850C8190
	v_fma_f32 v145, v145, s64, -v67                            // 00000000FC78: D1CB0091 850C8191
	v_fma_f32 v146, v146, s64, -v67                            // 00000000FC80: D1CB0092 850C8192
	v_fma_f32 v147, v147, s64, -v67                            // 00000000FC88: D1CB0093 850C8193
	v_fma_f32 v148, v148, s64, -v67                            // 00000000FC90: D1CB0094 850C8194
	v_fma_f32 v149, v149, s64, -v67                            // 00000000FC98: D1CB0095 850C8195
	v_fma_f32 v150, v150, s64, -v67                            // 00000000FCA0: D1CB0096 850C8196
	v_fma_f32 v151, v151, s64, -v67                            // 00000000FCA8: D1CB0097 850C8197
	v_fma_f32 v152, v152, s64, -v67                            // 00000000FCB0: D1CB0098 850C8198
	v_fma_f32 v153, v153, s64, -v67                            // 00000000FCB8: D1CB0099 850C8199
	v_fma_f32 v154, v154, s64, -v67                            // 00000000FCC0: D1CB009A 850C819A
	v_fma_f32 v155, v155, s64, -v67                            // 00000000FCC8: D1CB009B 850C819B
	v_fma_f32 v156, v156, s64, -v67                            // 00000000FCD0: D1CB009C 850C819C
	v_fma_f32 v157, v157, s64, -v67                            // 00000000FCD8: D1CB009D 850C819D
	v_fma_f32 v158, v158, s64, -v67                            // 00000000FCE0: D1CB009E 850C819E
	v_fma_f32 v159, v159, s64, -v67                            // 00000000FCE8: D1CB009F 850C819F
	v_exp_f32_e32 v144, v144                                   // 00000000FCF0: 7F204190
	v_exp_f32_e32 v145, v145                                   // 00000000FCF4: 7F224191
	v_exp_f32_e32 v146, v146                                   // 00000000FCF8: 7F244192
	v_exp_f32_e32 v147, v147                                   // 00000000FCFC: 7F264193
	v_exp_f32_e32 v148, v148                                   // 00000000FD00: 7F284194
	v_exp_f32_e32 v149, v149                                   // 00000000FD04: 7F2A4195
	v_exp_f32_e32 v150, v150                                   // 00000000FD08: 7F2C4196
	v_exp_f32_e32 v151, v151                                   // 00000000FD0C: 7F2E4197
	v_exp_f32_e32 v152, v152                                   // 00000000FD10: 7F304198
	v_exp_f32_e32 v153, v153                                   // 00000000FD14: 7F324199
	v_exp_f32_e32 v154, v154                                   // 00000000FD18: 7F34419A
	v_exp_f32_e32 v155, v155                                   // 00000000FD1C: 7F36419B
	v_exp_f32_e32 v156, v156                                   // 00000000FD20: 7F38419C
	v_exp_f32_e32 v157, v157                                   // 00000000FD24: 7F3A419D
	v_exp_f32_e32 v158, v158                                   // 00000000FD28: 7F3C419E
	v_exp_f32_e32 v159, v159                                   // 00000000FD2C: 7F3E419F
	v_mul_f32_dpp v240, v252, v144 quad_perm:[0,0,0,0] row_mask:0xf bank_mask:0xf// 00000000FD30: 0BE120FA FF0000FC
	v_mul_f32_dpp v241, v252, v145 quad_perm:[1,1,1,1] row_mask:0xf bank_mask:0xf// 00000000FD38: 0BE322FA FF0055FC
	v_mul_f32_dpp v242, v252, v146 quad_perm:[2,2,2,2] row_mask:0xf bank_mask:0xf// 00000000FD40: 0BE524FA FF00AAFC
	v_mul_f32_dpp v243, v252, v147 quad_perm:[3,3,3,3] row_mask:0xf bank_mask:0xf// 00000000FD48: 0BE726FA FF00FFFC
	v_mul_f32_dpp v244, v253, v148 quad_perm:[0,0,0,0] row_mask:0xf bank_mask:0xf// 00000000FD50: 0BE928FA FF0000FD
	v_mul_f32_dpp v245, v253, v149 quad_perm:[1,1,1,1] row_mask:0xf bank_mask:0xf// 00000000FD58: 0BEB2AFA FF0055FD
	v_mul_f32_dpp v246, v253, v150 quad_perm:[2,2,2,2] row_mask:0xf bank_mask:0xf// 00000000FD60: 0BED2CFA FF00AAFD
	v_mul_f32_dpp v247, v253, v151 quad_perm:[3,3,3,3] row_mask:0xf bank_mask:0xf// 00000000FD68: 0BEF2EFA FF00FFFD
	v_mul_f32_dpp v248, v254, v152 quad_perm:[0,0,0,0] row_mask:0xf bank_mask:0xf// 00000000FD70: 0BF130FA FF0000FE
	v_mul_f32_dpp v249, v254, v153 quad_perm:[1,1,1,1] row_mask:0xf bank_mask:0xf// 00000000FD78: 0BF332FA FF0055FE
	v_mul_f32_dpp v250, v254, v154 quad_perm:[2,2,2,2] row_mask:0xf bank_mask:0xf// 00000000FD80: 0BF534FA FF00AAFE
	v_mul_f32_dpp v251, v254, v155 quad_perm:[3,3,3,3] row_mask:0xf bank_mask:0xf// 00000000FD88: 0BF736FA FF00FFFE
	v_mul_f32_dpp v252, v255, v156 quad_perm:[0,0,0,0] row_mask:0xf bank_mask:0xf// 00000000FD90: 0BF938FA FF0000FF
	v_mul_f32_dpp v253, v255, v157 quad_perm:[1,1,1,1] row_mask:0xf bank_mask:0xf// 00000000FD98: 0BFB3AFA FF0055FF
	v_mul_f32_dpp v254, v255, v158 quad_perm:[2,2,2,2] row_mask:0xf bank_mask:0xf// 00000000FDA0: 0BFD3CFA FF00AAFF
	v_mul_f32_dpp v255, v255, v159 quad_perm:[3,3,3,3] row_mask:0xf bank_mask:0xf// 00000000FDA8: 0BFF3EFA FF00FFFF
	v_mov_b32_e32 v62, 0x358637bd                              // 00000000FDB0: 7E7C02FF 358637BD
	v_max3_f32 v62, |v240|, |v241|, v62                        // 00000000FDB8: D1D3033E 04FBE3F0
	v_max3_f32 v62, |v242|, |v243|, v62                        // 00000000FDC0: D1D3033E 04FBE7F2
	v_max3_f32 v62, |v244|, |v245|, v62                        // 00000000FDC8: D1D3033E 04FBEBF4
	v_max3_f32 v62, |v246|, |v247|, v62                        // 00000000FDD0: D1D3033E 04FBEFF6
	v_max3_f32 v62, |v248|, |v249|, v62                        // 00000000FDD8: D1D3033E 04FBF3F8
	v_max3_f32 v62, |v250|, |v251|, v62                        // 00000000FDE0: D1D3033E 04FBF7FA
	v_max3_f32 v62, |v252|, |v253|, v62                        // 00000000FDE8: D1D3033E 04FBFBFC
	v_max3_f32 v62, |v254|, |v255|, v62                        // 00000000FDF0: D1D3033E 04FBFFFE
	ds_write_b32 v11, v62 offset:20992                         // 00000000FDF8: D81A5200 00003E0B
	v_sub_f32_e32 v64, v15, v18                                // 00000000FE00: 0480250F
	v_cndmask_b32_e64 v64, v64, 0, s[40:41]                    // 00000000FE04: D1000040 00A10140
	v_mov_b32_e32 v15, v18                                     // 00000000FE0C: 7E1E0312
	v_mul_f32_e32 v64, s64, v64                                // 00000000FE10: 0A808040
	v_exp_f32_e32 v64, v64                                     // 00000000FE14: 7E804140
	s_waitcnt lgkmcnt(0)                                       // 00000000FE18: BF8CC07F
	s_barrier                                                  // 00000000FE1C: BF8A0000
	ds_read_b32 v80, v10 offset:20992                          // 00000000FE20: D86C5200 5000000A
	ds_read_b32 v81, v10 offset:21056                          // 00000000FE28: D86C5240 5100000A
	ds_read_b32 v82, v10 offset:21120                          // 00000000FE30: D86C5280 5200000A
	ds_read_b32 v83, v10 offset:21184                          // 00000000FE38: D86C52C0 5300000A
	ds_read_b32 v84, v10 offset:21248                          // 00000000FE40: D86C5300 5400000A
	ds_read_b32 v85, v10 offset:21312                          // 00000000FE48: D86C5340 5500000A
	ds_read_b32 v86, v10 offset:21376                          // 00000000FE50: D86C5380 5600000A
	ds_read_b32 v87, v10 offset:21440                          // 00000000FE58: D86C53C0 5700000A
	ds_read_b32 v88, v10 offset:21504                          // 00000000FE60: D86C5400 5800000A
	ds_read_b32 v89, v10 offset:21568                          // 00000000FE68: D86C5440 5900000A
	ds_read_b32 v90, v10 offset:21632                          // 00000000FE70: D86C5480 5A00000A
	ds_read_b32 v91, v10 offset:21696                          // 00000000FE78: D86C54C0 5B00000A
	ds_read_b32 v92, v10 offset:21760                          // 00000000FE80: D86C5500 5C00000A
	ds_read_b32 v93, v10 offset:21824                          // 00000000FE88: D86C5540 5D00000A
	ds_read_b32 v94, v10 offset:21888                          // 00000000FE90: D86C5580 5E00000A
	ds_read_b32 v95, v10 offset:21952                          // 00000000FE98: D86C55C0 5F00000A
	v_mul_f32_e32 v48, v64, v48                                // 00000000FEA0: 0A606140
	v_mov_b32_e32 v18, v144                                    // 00000000FEA4: 7E240390
	v_add_f32_e32 v18, v145, v18                               // 00000000FEA8: 02242591
	v_add_f32_e32 v18, v146, v18                               // 00000000FEAC: 02242592
	v_add_f32_e32 v18, v147, v18                               // 00000000FEB0: 02242593
	v_add_f32_e32 v18, v148, v18                               // 00000000FEB4: 02242594
	v_add_f32_e32 v18, v149, v18                               // 00000000FEB8: 02242595
	v_add_f32_e32 v18, v150, v18                               // 00000000FEBC: 02242596
	v_add_f32_e32 v18, v151, v18                               // 00000000FEC0: 02242597
	v_add_f32_e32 v18, v152, v18                               // 00000000FEC4: 02242598
	v_add_f32_e32 v18, v153, v18                               // 00000000FEC8: 02242599
	v_add_f32_e32 v18, v154, v18                               // 00000000FECC: 0224259A
	v_add_f32_e32 v18, v155, v18                               // 00000000FED0: 0224259B
	v_add_f32_e32 v18, v156, v18                               // 00000000FED4: 0224259C
	v_add_f32_e32 v18, v157, v18                               // 00000000FED8: 0224259D
	v_add_f32_e32 v18, v158, v18                               // 00000000FEDC: 0224259E
	v_add_f32_e32 v18, v159, v18                               // 00000000FEE0: 0224259F
	v_add_f32_e32 v48, v18, v48                                // 00000000FEE4: 02606112
	s_waitcnt lgkmcnt(0)                                       // 00000000FEE8: BF8CC07F
	v_max3_f32 v62, |v80|, |v81|, v62                          // 00000000FEEC: D1D3033E 04FAA350
	v_max3_f32 v62, |v82|, |v83|, v62                          // 00000000FEF4: D1D3033E 04FAA752
	v_max3_f32 v62, |v84|, |v85|, v62                          // 00000000FEFC: D1D3033E 04FAAB54
	v_max3_f32 v62, |v86|, |v87|, v62                          // 00000000FF04: D1D3033E 04FAAF56
	v_max3_f32 v62, |v88|, |v89|, v62                          // 00000000FF0C: D1D3033E 04FAB358
	v_max3_f32 v62, |v90|, |v91|, v62                          // 00000000FF14: D1D3033E 04FAB75A
	v_max3_f32 v62, |v92|, |v93|, v62                          // 00000000FF1C: D1D3033E 04FABB5C
	v_max3_f32 v62, |v94|, |v95|, v62                          // 00000000FF24: D1D3033E 04FABF5E
	s_nop 2                                                    // 00000000FF2C: BF800002
	v_rcp_f32_e32 v62, v62                                     // 00000000FF30: 7E7C453E
	s_nop 1                                                    // 00000000FF34: BF800001
	v_mul_f32_e32 v62, 0x43e00000, v62                         // 00000000FF38: 0A7C7CFF 43E00000
	v_mul_f32_e32 v144, v62, v240                              // 00000000FF40: 0B21E13E
	v_mul_f32_e32 v145, v62, v241                              // 00000000FF44: 0B23E33E
	v_mul_f32_e32 v146, v62, v242                              // 00000000FF48: 0B25E53E
	v_mul_f32_e32 v147, v62, v243                              // 00000000FF4C: 0B27E73E
	v_mul_f32_e32 v148, v62, v244                              // 00000000FF50: 0B29E93E
	v_mul_f32_e32 v149, v62, v245                              // 00000000FF54: 0B2BEB3E
	v_mul_f32_e32 v150, v62, v246                              // 00000000FF58: 0B2DED3E
	v_mul_f32_e32 v151, v62, v247                              // 00000000FF5C: 0B2FEF3E
	v_mul_f32_e32 v152, v62, v248                              // 00000000FF60: 0B31F13E
	v_mul_f32_e32 v153, v62, v249                              // 00000000FF64: 0B33F33E
	v_mul_f32_e32 v154, v62, v250                              // 00000000FF68: 0B35F53E
	v_mul_f32_e32 v155, v62, v251                              // 00000000FF6C: 0B37F73E
	v_mul_f32_e32 v156, v62, v252                              // 00000000FF70: 0B39F93E
	v_mul_f32_e32 v157, v62, v253                              // 00000000FF74: 0B3BFB3E
	v_mul_f32_e32 v158, v62, v254                              // 00000000FF78: 0B3DFD3E
	v_mul_f32_e32 v159, v62, v255                              // 00000000FF7C: 0B3FFF3E
	v_cvt_pk_fp8_f32 v144, v144, v145                          // 00000000FF80: D2A20090 00032390
	v_cvt_pk_fp8_f32 v144, v146, v147 op_sel:[0,0,1]           // 00000000FF88: D2A24090 00032792
	v_cvt_pk_fp8_f32 v145, v148, v149                          // 00000000FF90: D2A20091 00032B94
	v_cvt_pk_fp8_f32 v145, v150, v151 op_sel:[0,0,1]           // 00000000FF98: D2A24091 00032F96
	v_cvt_pk_fp8_f32 v146, v152, v153                          // 00000000FFA0: D2A20092 00033398
	v_cvt_pk_fp8_f32 v146, v154, v155 op_sel:[0,0,1]           // 00000000FFA8: D2A24092 0003379A
	v_cvt_pk_fp8_f32 v147, v156, v157                          // 00000000FFB0: D2A20093 00033B9C
	v_cvt_pk_fp8_f32 v147, v158, v159 op_sel:[0,0,1]           // 00000000FFB8: D2A24093 00033F9E
	ds_write_b32 v13, v144 offset:29184                        // 00000000FFC0: D81A7200 0000900D
	ds_write_b32 v13, v145 offset:30208                        // 00000000FFC8: D81A7600 0000910D
	ds_write_b32 v13, v146 offset:31232                        // 00000000FFD0: D81A7A00 0000920D
	ds_write_b32 v13, v147 offset:32256                        // 00000000FFD8: D81A7E00 0000930D
	v_add_f32_e32 v232, v232, v200                             // 00000000FFE0: 03D191E8
	v_add_f32_e32 v233, v233, v201                             // 00000000FFE4: 03D393E9
	v_add_f32_e32 v234, v234, v202                             // 00000000FFE8: 03D595EA
	v_add_f32_e32 v235, v235, v203                             // 00000000FFEC: 03D797EB
	v_add_f32_e32 v236, v236, v204                             // 00000000FFF0: 03D999EC
	v_add_f32_e32 v237, v237, v205                             // 00000000FFF4: 03DB9BED
	v_add_f32_e32 v238, v238, v206                             // 00000000FFF8: 03DD9DEE
	v_add_f32_e32 v239, v239, v207                             // 00000000FFFC: 03DF9FEF
	v_rcp_f32_e32 v59, v62                                     // 000000010000: 7E76453E
	s_waitcnt lgkmcnt(0)                                       // 000000010004: BF8CC07F
	s_barrier                                                  // 000000010008: BF8A0000
	ds_read_b64 v[144:145], v12 offset:29184                   // 00000001000C: D8EC7200 9000000C
	ds_read_b64 v[146:147], v12 offset:29312                   // 000000010014: D8EC7280 9200000C
	ds_read_b64 v[148:149], v12 offset:30208                   // 00000001001C: D8EC7600 9400000C
	ds_read_b64 v[150:151], v12 offset:30336                   // 000000010024: D8EC7680 9600000C
	ds_read_b64 v[152:153], v12 offset:31232                   // 00000001002C: D8EC7A00 9800000C
	ds_read_b64 v[154:155], v12 offset:31360                   // 000000010034: D8EC7A80 9A00000C
	ds_read_b64 v[156:157], v12 offset:32256                   // 00000001003C: D8EC7E00 9C00000C
	ds_read_b64 v[158:159], v12 offset:32384                   // 000000010044: D8EC7E80 9E00000C
	s_waitcnt vmcnt(15)                                        // 00000001004C: BF8C0F7F
	v_mfma_f32_16x16x32_fp8_fp8 v[192:195], a[96:97], v[128:129], 0// 000000010050: D3F300C0 0A030160
	buffer_load_dwordx4 a[80:83], v33, s[20:23], 0 offen offset:1024// 000000010058: E05C1400 80855021
	v_mfma_f32_16x16x32_fp8_fp8 v[192:195], a[98:99], v[130:131], v[192:195]// 000000010060: D3F300C0 0F030562
	v_mfma_f32_16x16x32_fp8_fp8 v[192:195], a[100:101], v[132:133], v[192:195]// 000000010068: D3F300C0 0F030964
	v_mfma_f32_16x16x32_fp8_fp8 v[192:195], a[102:103], v[134:135], v[192:195]// 000000010070: D3F300C0 0F030D66
	v_mfma_f32_16x16x32_fp8_fp8 v[192:195], a[104:105], v[136:137], v[192:195]// 000000010078: D3F300C0 0F031168
	buffer_load_dwordx4 a[84:87], v34, s[20:23], 0 offen offset:1024// 000000010080: E05C1400 80855422
	v_mfma_f32_16x16x32_fp8_fp8 v[192:195], a[106:107], v[138:139], v[192:195]// 000000010088: D3F300C0 0F03156A
	v_mfma_f32_16x16x32_fp8_fp8 v[192:195], a[108:109], v[140:141], v[192:195]// 000000010090: D3F300C0 0F03196C
	v_mfma_f32_16x16x32_fp8_fp8 v[192:195], a[110:111], v[142:143], v[192:195]// 000000010098: D3F300C0 0F031D6E
	v_mfma_f32_16x16x32_fp8_fp8 v[196:199], a[112:113], v[128:129], 0// 0000000100A0: D3F300C4 0A030170
	buffer_load_dwordx4 a[88:91], v35, s[20:23], 0 offen offset:1024// 0000000100A8: E05C1400 80855823
	v_mfma_f32_16x16x32_fp8_fp8 v[196:199], a[114:115], v[130:131], v[196:199]// 0000000100B0: D3F300C4 0F130572
	v_mfma_f32_16x16x32_fp8_fp8 v[196:199], a[116:117], v[132:133], v[196:199]// 0000000100B8: D3F300C4 0F130974
	v_mfma_f32_16x16x32_fp8_fp8 v[196:199], a[118:119], v[134:135], v[196:199]// 0000000100C0: D3F300C4 0F130D76
	v_mfma_f32_16x16x32_fp8_fp8 v[196:199], a[120:121], v[136:137], v[196:199]// 0000000100C8: D3F300C4 0F131178
	buffer_load_dwordx4 a[92:95], v36, s[20:23], 0 offen offset:1024// 0000000100D0: E05C1400 80855C24
	v_mfma_f32_16x16x32_fp8_fp8 v[196:199], a[122:123], v[138:139], v[196:199]// 0000000100D8: D3F300C4 0F13157A
	v_mfma_f32_16x16x32_fp8_fp8 v[196:199], a[124:125], v[140:141], v[196:199]// 0000000100E0: D3F300C4 0F13197C
	s_lshr_b32 s57, s70, 4                                     // 0000000100E8: 8F398446
	s_add_u32 s57, 48, s57                                     // 0000000100EC: 803939B0
	v_mfma_f32_16x16x32_fp8_fp8 v[196:199], a[126:127], v[142:143], v[196:199]// 0000000100F0: D3F300C4 0F131D7E
	s_cmp_ge_u32 s57, s73                                      // 0000000100F8: BF094939
	s_cselect_b32 s56, 0, s56                                  // 0000000100FC: 85383880
	v_mfma_f32_16x16x32_fp8_fp8 v[200:203], a[96:97], v[144:145], 0// 000000010100: D3F300C8 0A032160
	v_mfma_f32_16x16x32_fp8_fp8 v[200:203], a[98:99], v[146:147], v[200:203]// 000000010108: D3F300C8 0F232562
	v_mfma_f32_16x16x32_fp8_fp8 v[200:203], a[100:101], v[148:149], v[200:203]// 000000010110: D3F300C8 0F232964
	v_mfma_f32_16x16x32_fp8_fp8 v[200:203], a[102:103], v[150:151], v[200:203]// 000000010118: D3F300C8 0F232D66
	v_mfma_f32_16x16x32_fp8_fp8 v[200:203], a[104:105], v[152:153], v[200:203]// 000000010120: D3F300C8 0F233168
	v_mfma_f32_16x16x32_fp8_fp8 v[200:203], a[106:107], v[154:155], v[200:203]// 000000010128: D3F300C8 0F23356A
	v_mfma_f32_16x16x32_fp8_fp8 v[200:203], a[108:109], v[156:157], v[200:203]// 000000010130: D3F300C8 0F23396C
	v_mfma_f32_16x16x32_fp8_fp8 v[200:203], a[110:111], v[158:159], v[200:203]// 000000010138: D3F300C8 0F233D6E
	v_mfma_f32_16x16x32_fp8_fp8 v[204:207], a[112:113], v[144:145], 0// 000000010140: D3F300CC 0A032170
	v_mfma_f32_16x16x32_fp8_fp8 v[204:207], a[114:115], v[146:147], v[204:207]// 000000010148: D3F300CC 0F332572
	v_mfma_f32_16x16x32_fp8_fp8 v[204:207], a[116:117], v[148:149], v[204:207]// 000000010150: D3F300CC 0F332974
	v_mfma_f32_16x16x32_fp8_fp8 v[204:207], a[118:119], v[150:151], v[204:207]// 000000010158: D3F300CC 0F332D76
	v_mfma_f32_16x16x32_fp8_fp8 v[204:207], a[120:121], v[152:153], v[204:207]// 000000010160: D3F300CC 0F333178
	v_mfma_f32_16x16x32_fp8_fp8 v[204:207], a[122:123], v[154:155], v[204:207]// 000000010168: D3F300CC 0F33357A
	v_mfma_f32_16x16x32_fp8_fp8 v[204:207], a[124:125], v[156:157], v[204:207]// 000000010170: D3F300CC 0F33397C
	v_mfma_f32_16x16x32_fp8_fp8 v[204:207], a[126:127], v[158:159], v[204:207]// 000000010178: D3F300CC 0F333D7E
	v_add_u32_e32 v1, s56, v1                                  // 000000010180: 68020238
	s_addk_i32 s70, 0x100                                      // 000000010184: B7460100
	s_cmp_lt_i32 s70, s71                                      // 000000010188: BF044746
	s_cbranch_scc0 label_2D8F                                  // 00000001018C: BF84F5AB
	s_branch label_2D92                                        // 000000010190: BF82F5AD

0000000000010194 <label_37E5>:
	s_lshr_b32 s60, s71, 4                                     // 000000010194: 8F3C8447
	s_cmp_eq_i32 s60, s73                                      // 000000010198: BF00493C
	s_cbranch_scc1 label_4376                                  // 00000001019C: BF850B8E
	s_lshr_b32 s60, s71, 8                                     // 0000000101A0: 8F3C8847
	s_and_b32 s60, s60, 1                                      // 0000000101A4: 863C813C
	s_cmp_eq_i32 s60, 1                                        // 0000000101A8: BF00813C
	s_cbranch_scc1 label_3DB1                                  // 0000000101AC: BF8505C5
	s_waitcnt vmcnt(8) lgkmcnt(0)                              // 0000000101B0: BF8C0078
	s_barrier                                                  // 0000000101B4: BF8A0000
	v_mfma_f32_16x16x32_fp8_fp8 v[128:131], a[0:1], v[96:97], 0// 0000000101B8: D3F30080 0A02C100
	v_mfma_f32_16x16x32_fp8_fp8 v[128:131], a[2:3], v[98:99], v[128:131]// 0000000101C0: D3F30080 0E02C502
	v_mfma_f32_16x16x32_fp8_fp8 v[128:131], a[4:5], v[100:101], v[128:131]// 0000000101C8: D3F30080 0E02C904
	v_mfma_f32_16x16x32_fp8_fp8 v[128:131], a[6:7], v[102:103], v[128:131]// 0000000101D0: D3F30080 0E02CD06
	v_mfma_f32_16x16x32_fp8_fp8 v[132:135], a[8:9], v[96:97], 0// 0000000101D8: D3F30084 0A02C108
	v_mfma_f32_16x16x32_fp8_fp8 v[132:135], a[10:11], v[98:99], v[132:135]// 0000000101E0: D3F30084 0E12C50A
	v_mfma_f32_16x16x32_fp8_fp8 v[132:135], a[12:13], v[100:101], v[132:135]// 0000000101E8: D3F30084 0E12C90C
	v_mfma_f32_16x16x32_fp8_fp8 v[132:135], a[14:15], v[102:103], v[132:135]// 0000000101F0: D3F30084 0E12CD0E
	v_mfma_f32_16x16x32_fp8_fp8 v[136:139], a[16:17], v[96:97], 0// 0000000101F8: D3F30088 0A02C110
	v_mfma_f32_16x16x32_fp8_fp8 v[136:139], a[18:19], v[98:99], v[136:139]// 000000010200: D3F30088 0E22C512
	v_mfma_f32_16x16x32_fp8_fp8 v[136:139], a[20:21], v[100:101], v[136:139]// 000000010208: D3F30088 0E22C914
	v_mfma_f32_16x16x32_fp8_fp8 v[136:139], a[22:23], v[102:103], v[136:139]// 000000010210: D3F30088 0E22CD16
	v_mfma_f32_16x16x32_fp8_fp8 v[140:143], a[24:25], v[96:97], 0// 000000010218: D3F3008C 0A02C118
	v_mfma_f32_16x16x32_fp8_fp8 v[140:143], a[26:27], v[98:99], v[140:143]// 000000010220: D3F3008C 0E32C51A
	v_mfma_f32_16x16x32_fp8_fp8 v[140:143], a[28:29], v[100:101], v[140:143]// 000000010228: D3F3008C 0E32C91C
	v_mfma_f32_16x16x32_fp8_fp8 v[140:143], a[30:31], v[102:103], v[140:143]// 000000010230: D3F3008C 0E32CD1E
	v_mfma_f32_16x16x32_fp8_fp8 v[144:147], a[0:1], v[104:105], 0// 000000010238: D3F30090 0A02D100
	v_mfma_f32_16x16x32_fp8_fp8 v[144:147], a[2:3], v[106:107], v[144:147]// 000000010240: D3F30090 0E42D502
	v_mfma_f32_16x16x32_fp8_fp8 v[144:147], a[4:5], v[108:109], v[144:147]// 000000010248: D3F30090 0E42D904
	v_mfma_f32_16x16x32_fp8_fp8 v[144:147], a[6:7], v[110:111], v[144:147]// 000000010250: D3F30090 0E42DD06
	v_mfma_f32_16x16x32_fp8_fp8 v[148:151], a[8:9], v[104:105], 0// 000000010258: D3F30094 0A02D108
	v_mfma_f32_16x16x32_fp8_fp8 v[148:151], a[10:11], v[106:107], v[148:151]// 000000010260: D3F30094 0E52D50A
	v_mfma_f32_16x16x32_fp8_fp8 v[148:151], a[12:13], v[108:109], v[148:151]// 000000010268: D3F30094 0E52D90C
	v_mfma_f32_16x16x32_fp8_fp8 v[148:151], a[14:15], v[110:111], v[148:151]// 000000010270: D3F30094 0E52DD0E
	v_mfma_f32_16x16x32_fp8_fp8 v[152:155], a[16:17], v[104:105], 0// 000000010278: D3F30098 0A02D110
	v_mfma_f32_16x16x32_fp8_fp8 v[152:155], a[18:19], v[106:107], v[152:155]// 000000010280: D3F30098 0E62D512
	v_mfma_f32_16x16x32_fp8_fp8 v[152:155], a[20:21], v[108:109], v[152:155]// 000000010288: D3F30098 0E62D914
	v_mfma_f32_16x16x32_fp8_fp8 v[152:155], a[22:23], v[110:111], v[152:155]// 000000010290: D3F30098 0E62DD16
	v_mfma_f32_16x16x32_fp8_fp8 v[156:159], a[24:25], v[104:105], 0// 000000010298: D3F3009C 0A02D118
	v_mfma_f32_16x16x32_fp8_fp8 v[156:159], a[26:27], v[106:107], v[156:159]// 0000000102A0: D3F3009C 0E72D51A
	v_mfma_f32_16x16x32_fp8_fp8 v[156:159], a[28:29], v[108:109], v[156:159]// 0000000102A8: D3F3009C 0E72D91C
	v_mfma_f32_16x16x32_fp8_fp8 v[156:159], a[30:31], v[110:111], v[156:159]// 0000000102B0: D3F3009C 0E72DD1E
	v_mov_b32_dpp v41, v52 row_shr:4 row_mask:0xf bank_mask:0xf// 0000000102B8: 7E5202FA FF011434
	v_mov_b32_dpp v42, v52 row_shl:4 row_mask:0xf bank_mask:0xf// 0000000102C0: 7E5402FA FF010434
	v_cndmask_b32_e64 v248, v52, v41, s[44:45]                 // 0000000102C8: D10000F8 00B25334
	v_cndmask_b32_e64 v249, v42, v52, s[44:45]                 // 0000000102D0: D10000F9 00B2692A
	v_mov_b32_dpp v41, v248 row_shr:8 row_mask:0xf bank_mask:0xf// 0000000102D8: 7E5202FA FF0118F8
	v_mov_b32_dpp v42, v248 row_shl:8 row_mask:0xf bank_mask:0xf// 0000000102E0: 7E5402FA FF0108F8
	v_mov_b32_dpp v43, v249 row_shr:8 row_mask:0xf bank_mask:0xf// 0000000102E8: 7E5602FA FF0118F9
	v_mov_b32_dpp v44, v249 row_shl:8 row_mask:0xf bank_mask:0xf// 0000000102F0: 7E5802FA FF0108F9
	v_mov_b32_e32 v45, v248                                    // 0000000102F8: 7E5A03F8
	v_mov_b32_e32 v46, v249                                    // 0000000102FC: 7E5C03F9
	v_cndmask_b32_e64 v248, v45, v41, s[42:43]                 // 000000010300: D10000F8 00AA532D
	v_cndmask_b32_e64 v250, v45, v42, s[78:79]                 // 000000010308: D10000FA 013A552D
	v_cndmask_b32_e64 v249, v46, v43, s[42:43]                 // 000000010310: D10000F9 00AA572E
	v_cndmask_b32_e64 v251, v46, v44, s[78:79]                 // 000000010318: D10000FB 013A592E
	v_mov_b32_dpp v41, v72 row_shr:4 row_mask:0xf bank_mask:0xf// 000000010320: 7E5202FA FF011448
	v_mov_b32_dpp v42, v72 row_shl:4 row_mask:0xf bank_mask:0xf// 000000010328: 7E5402FA FF010448
	v_cndmask_b32_e64 v252, v72, v41, s[44:45]                 // 000000010330: D10000FC 00B25348
	v_cndmask_b32_e64 v253, v42, v72, s[44:45]                 // 000000010338: D10000FD 00B2912A
	v_mov_b32_dpp v41, v252 row_shr:8 row_mask:0xf bank_mask:0xf// 000000010340: 7E5202FA FF0118FC
	v_mov_b32_dpp v42, v252 row_shl:8 row_mask:0xf bank_mask:0xf// 000000010348: 7E5402FA FF0108FC
	v_mov_b32_dpp v43, v253 row_shr:8 row_mask:0xf bank_mask:0xf// 000000010350: 7E5602FA FF0118FD
	v_mov_b32_dpp v44, v253 row_shl:8 row_mask:0xf bank_mask:0xf// 000000010358: 7E5802FA FF0108FD
	v_mov_b32_e32 v45, v252                                    // 000000010360: 7E5A03FC
	v_mov_b32_e32 v46, v253                                    // 000000010364: 7E5C03FD
	v_cndmask_b32_e64 v252, v45, v41, s[42:43]                 // 000000010368: D10000FC 00AA532D
	v_cndmask_b32_e64 v254, v45, v42, s[78:79]                 // 000000010370: D10000FE 013A552D
	v_cndmask_b32_e64 v253, v46, v43, s[42:43]                 // 000000010378: D10000FD 00AA572E
	v_cndmask_b32_e64 v255, v46, v44, s[78:79]                 // 000000010380: D10000FF 013A592E
	v_mul_f32_e32 v128, v54, v128                              // 000000010388: 0B010136
	v_mul_f32_e32 v129, v54, v129                              // 00000001038C: 0B030336
	v_mul_f32_e32 v130, v54, v130                              // 000000010390: 0B050536
	v_mul_f32_e32 v131, v54, v131                              // 000000010394: 0B070736
	v_mul_f32_e32 v132, v54, v132                              // 000000010398: 0B090936
	v_mul_f32_e32 v133, v54, v133                              // 00000001039C: 0B0B0B36
	v_mul_f32_e32 v134, v54, v134                              // 0000000103A0: 0B0D0D36
	v_mul_f32_e32 v135, v54, v135                              // 0000000103A4: 0B0F0F36
	v_mul_f32_e32 v136, v54, v136                              // 0000000103A8: 0B111136
	v_mul_f32_e32 v137, v54, v137                              // 0000000103AC: 0B131336
	v_mul_f32_e32 v138, v54, v138                              // 0000000103B0: 0B151536
	v_mul_f32_e32 v139, v54, v139                              // 0000000103B4: 0B171736
	v_mul_f32_e32 v140, v54, v140                              // 0000000103B8: 0B191936
	v_mul_f32_e32 v141, v54, v141                              // 0000000103BC: 0B1B1B36
	v_mul_f32_e32 v142, v54, v142                              // 0000000103C0: 0B1D1D36
	v_mul_f32_e32 v143, v54, v143                              // 0000000103C4: 0B1F1F36
	v_mul_f32_dpp v128, v248, v128 quad_perm:[0,0,0,0] row_mask:0xf bank_mask:0xf// 0000000103C8: 0B0100FA FF0000F8
	v_mul_f32_dpp v129, v248, v129 quad_perm:[1,1,1,1] row_mask:0xf bank_mask:0xf// 0000000103D0: 0B0302FA FF0055F8
	v_mul_f32_dpp v130, v248, v130 quad_perm:[2,2,2,2] row_mask:0xf bank_mask:0xf// 0000000103D8: 0B0504FA FF00AAF8
	v_mul_f32_dpp v131, v248, v131 quad_perm:[3,3,3,3] row_mask:0xf bank_mask:0xf// 0000000103E0: 0B0706FA FF00FFF8
	v_mul_f32_dpp v132, v249, v132 quad_perm:[0,0,0,0] row_mask:0xf bank_mask:0xf// 0000000103E8: 0B0908FA FF0000F9
	v_mul_f32_dpp v133, v249, v133 quad_perm:[1,1,1,1] row_mask:0xf bank_mask:0xf// 0000000103F0: 0B0B0AFA FF0055F9
	v_mul_f32_dpp v134, v249, v134 quad_perm:[2,2,2,2] row_mask:0xf bank_mask:0xf// 0000000103F8: 0B0D0CFA FF00AAF9
	v_mul_f32_dpp v135, v249, v135 quad_perm:[3,3,3,3] row_mask:0xf bank_mask:0xf// 000000010400: 0B0F0EFA FF00FFF9
	v_mul_f32_dpp v136, v250, v136 quad_perm:[0,0,0,0] row_mask:0xf bank_mask:0xf// 000000010408: 0B1110FA FF0000FA
	v_mul_f32_dpp v137, v250, v137 quad_perm:[1,1,1,1] row_mask:0xf bank_mask:0xf// 000000010410: 0B1312FA FF0055FA
	v_mul_f32_dpp v138, v250, v138 quad_perm:[2,2,2,2] row_mask:0xf bank_mask:0xf// 000000010418: 0B1514FA FF00AAFA
	v_mul_f32_dpp v139, v250, v139 quad_perm:[3,3,3,3] row_mask:0xf bank_mask:0xf// 000000010420: 0B1716FA FF00FFFA
	v_mul_f32_dpp v140, v251, v140 quad_perm:[0,0,0,0] row_mask:0xf bank_mask:0xf// 000000010428: 0B1918FA FF0000FB
	v_mul_f32_dpp v141, v251, v141 quad_perm:[1,1,1,1] row_mask:0xf bank_mask:0xf// 000000010430: 0B1B1AFA FF0055FB
	v_mul_f32_dpp v142, v251, v142 quad_perm:[2,2,2,2] row_mask:0xf bank_mask:0xf// 000000010438: 0B1D1CFA FF00AAFB
	v_mul_f32_dpp v143, v251, v143 quad_perm:[3,3,3,3] row_mask:0xf bank_mask:0xf// 000000010440: 0B1F1EFA FF00FFFB
	s_cmp_le_i32 s90, s89                                      // 000000010448: BF05595A
	s_cbranch_scc1 label_3907                                  // 00000001044C: BF850073
	v_mov_b32_e32 v69, 0xff800000                              // 000000010450: 7E8A02FF FF800000
	s_mov_b32 s60, s90                                         // 000000010458: BEBC005A
	s_add_u32 s61, s89, 0xff                                   // 00000001045C: 803DFF59 000000FF
	v_mov_b32_e32 v41, s61                                     // 000000010464: 7E52023D
	v_lshrrev_b32_e32 v240, 4, v0                              // 000000010468: 21E00084
	v_mul_i32_i24_e32 v240, 4, v240                            // 00000001046C: 0DE1E084
	v_add_u32_e32 v240, s60, v240                              // 000000010470: 69E1E03C
	v_and_b32_e32 v42, 15, v0                                  // 000000010474: 2654008F
	v_lshrrev_b32_e32 v42, 3, v42                              // 000000010478: 20545483
	s_mov_b32 s61, 0                                           // 00000001047C: BEBD0080
	s_mul_i32 s60, 16, s7                                      // 000000010480: 923C0790
	v_add_u32_e32 v42, s61, v42                                // 000000010484: 6854543D
	v_sub_u32_e32 v240, v240, v42                              // 000000010488: 6BE055F0
	v_add_u32_e32 v240, s60, v240                              // 00000001048C: 69E1E03C
	v_add_u32_e32 v241, 1, v240                                // 000000010490: 69E3E081
	v_add_u32_e32 v242, 2, v240                                // 000000010494: 69E5E082
	v_add_u32_e32 v243, 3, v240                                // 000000010498: 69E7E083
	v_cmp_le_u32_e64 s[40:41], v240, v41                       // 00000001049C: D0CB0028 000253F0
	v_add_u32_e32 v240, 64, v240                               // 0000000104A4: 69E1E0C0
	s_nop 0                                                    // 0000000104A8: BF800000
	v_cndmask_b32_e64 v128, v69, v128, s[40:41]                // 0000000104AC: D1000080 00A30145
	v_cmp_le_u32_e64 s[40:41], v241, v41                       // 0000000104B4: D0CB0028 000253F1
	v_add_u32_e32 v241, 64, v241                               // 0000000104BC: 69E3E2C0
	s_nop 0                                                    // 0000000104C0: BF800000
	v_cndmask_b32_e64 v129, v69, v129, s[40:41]                // 0000000104C4: D1000081 00A30345
	v_cmp_le_u32_e64 s[40:41], v242, v41                       // 0000000104CC: D0CB0028 000253F2
	v_add_u32_e32 v242, 64, v242                               // 0000000104D4: 69E5E4C0
	s_nop 0                                                    // 0000000104D8: BF800000
	v_cndmask_b32_e64 v130, v69, v130, s[40:41]                // 0000000104DC: D1000082 00A30545
	v_cmp_le_u32_e64 s[40:41], v243, v41                       // 0000000104E4: D0CB0028 000253F3
	v_add_u32_e32 v243, 64, v243                               // 0000000104EC: 69E7E6C0
	s_nop 0                                                    // 0000000104F0: BF800000
	v_cndmask_b32_e64 v131, v69, v131, s[40:41]                // 0000000104F4: D1000083 00A30745
	v_cmp_le_u32_e64 s[40:41], v240, v41                       // 0000000104FC: D0CB0028 000253F0
	v_add_u32_e32 v240, 64, v240                               // 000000010504: 69E1E0C0
	s_nop 0                                                    // 000000010508: BF800000
	v_cndmask_b32_e64 v132, v69, v132, s[40:41]                // 00000001050C: D1000084 00A30945
	v_cmp_le_u32_e64 s[40:41], v241, v41                       // 000000010514: D0CB0028 000253F1
	v_add_u32_e32 v241, 64, v241                               // 00000001051C: 69E3E2C0
	s_nop 0                                                    // 000000010520: BF800000
	v_cndmask_b32_e64 v133, v69, v133, s[40:41]                // 000000010524: D1000085 00A30B45
	v_cmp_le_u32_e64 s[40:41], v242, v41                       // 00000001052C: D0CB0028 000253F2
	v_add_u32_e32 v242, 64, v242                               // 000000010534: 69E5E4C0
	s_nop 0                                                    // 000000010538: BF800000
	v_cndmask_b32_e64 v134, v69, v134, s[40:41]                // 00000001053C: D1000086 00A30D45
	v_cmp_le_u32_e64 s[40:41], v243, v41                       // 000000010544: D0CB0028 000253F3
	v_add_u32_e32 v243, 64, v243                               // 00000001054C: 69E7E6C0
	s_nop 0                                                    // 000000010550: BF800000
	v_cndmask_b32_e64 v135, v69, v135, s[40:41]                // 000000010554: D1000087 00A30F45
	v_cmp_le_u32_e64 s[40:41], v240, v41                       // 00000001055C: D0CB0028 000253F0
	v_add_u32_e32 v240, 64, v240                               // 000000010564: 69E1E0C0
	s_nop 0                                                    // 000000010568: BF800000
	v_cndmask_b32_e64 v136, v69, v136, s[40:41]                // 00000001056C: D1000088 00A31145
	v_cmp_le_u32_e64 s[40:41], v241, v41                       // 000000010574: D0CB0028 000253F1
	v_add_u32_e32 v241, 64, v241                               // 00000001057C: 69E3E2C0
	s_nop 0                                                    // 000000010580: BF800000
	v_cndmask_b32_e64 v137, v69, v137, s[40:41]                // 000000010584: D1000089 00A31345
	v_cmp_le_u32_e64 s[40:41], v242, v41                       // 00000001058C: D0CB0028 000253F2
	v_add_u32_e32 v242, 64, v242                               // 000000010594: 69E5E4C0
	s_nop 0                                                    // 000000010598: BF800000
	v_cndmask_b32_e64 v138, v69, v138, s[40:41]                // 00000001059C: D100008A 00A31545
	v_cmp_le_u32_e64 s[40:41], v243, v41                       // 0000000105A4: D0CB0028 000253F3
	v_add_u32_e32 v243, 64, v243                               // 0000000105AC: 69E7E6C0
	s_nop 0                                                    // 0000000105B0: BF800000
	v_cndmask_b32_e64 v139, v69, v139, s[40:41]                // 0000000105B4: D100008B 00A31745
	v_cmp_le_u32_e64 s[40:41], v240, v41                       // 0000000105BC: D0CB0028 000253F0
	v_add_u32_e32 v240, 64, v240                               // 0000000105C4: 69E1E0C0
	s_nop 0                                                    // 0000000105C8: BF800000
	v_cndmask_b32_e64 v140, v69, v140, s[40:41]                // 0000000105CC: D100008C 00A31945
	v_cmp_le_u32_e64 s[40:41], v241, v41                       // 0000000105D4: D0CB0028 000253F1
	v_add_u32_e32 v241, 64, v241                               // 0000000105DC: 69E3E2C0
	s_nop 0                                                    // 0000000105E0: BF800000
	v_cndmask_b32_e64 v141, v69, v141, s[40:41]                // 0000000105E4: D100008D 00A31B45
	v_cmp_le_u32_e64 s[40:41], v242, v41                       // 0000000105EC: D0CB0028 000253F2
	v_add_u32_e32 v242, 64, v242                               // 0000000105F4: 69E5E4C0
	s_nop 0                                                    // 0000000105F8: BF800000
	v_cndmask_b32_e64 v142, v69, v142, s[40:41]                // 0000000105FC: D100008E 00A31D45
	v_cmp_le_u32_e64 s[40:41], v243, v41                       // 000000010604: D0CB0028 000253F3
	v_add_u32_e32 v243, 64, v243                               // 00000001060C: 69E7E6C0
	s_nop 0                                                    // 000000010610: BF800000
	v_cndmask_b32_e64 v143, v69, v143, s[40:41]                // 000000010614: D100008F 00A31F45

000000000001061c <label_3907>:
	s_and_b32 s60, s72, 0xff                                   // 00000001061C: 863CFF48 000000FF
	v_mov_b32_e32 v42, s60                                     // 000000010624: 7E54023C
	v_lshrrev_b32_e32 v240, 4, v0                              // 000000010628: 21E00084
	v_mul_i32_i24_e32 v240, 4, v240                            // 00000001062C: 0DE1E084
	s_mul_i32 s60, s7, 16                                      // 000000010630: 923C9007
	v_add_u32_e32 v240, s60, v240                              // 000000010634: 69E1E03C
	v_add_u32_e32 v241, 1, v240                                // 000000010638: 69E3E081
	v_add_u32_e32 v242, 2, v240                                // 00000001063C: 69E5E082
	v_add_u32_e32 v243, 3, v240                                // 000000010640: 69E7E083
	v_mov_b32_e32 v41, 0xff800000                              // 000000010644: 7E5202FF FF800000
	v_cmp_lt_u32_e64 s[40:41], v240, v42                       // 00000001064C: D0C90028 000255F0
	v_add_u32_e32 v240, 64, v240                               // 000000010654: 69E1E0C0
	s_nop 0                                                    // 000000010658: BF800000
	v_cndmask_b32_e64 v128, v41, v128, s[40:41]                // 00000001065C: D1000080 00A30129
	v_cmp_lt_u32_e64 s[40:41], v241, v42                       // 000000010664: D0C90028 000255F1
	v_add_u32_e32 v241, 64, v241                               // 00000001066C: 69E3E2C0
	s_nop 0                                                    // 000000010670: BF800000
	v_cndmask_b32_e64 v129, v41, v129, s[40:41]                // 000000010674: D1000081 00A30329
	v_cmp_lt_u32_e64 s[40:41], v242, v42                       // 00000001067C: D0C90028 000255F2
	v_add_u32_e32 v242, 64, v242                               // 000000010684: 69E5E4C0
	s_nop 0                                                    // 000000010688: BF800000
	v_cndmask_b32_e64 v130, v41, v130, s[40:41]                // 00000001068C: D1000082 00A30529
	v_cmp_lt_u32_e64 s[40:41], v243, v42                       // 000000010694: D0C90028 000255F3
	v_add_u32_e32 v243, 64, v243                               // 00000001069C: 69E7E6C0
	s_nop 0                                                    // 0000000106A0: BF800000
	v_cndmask_b32_e64 v131, v41, v131, s[40:41]                // 0000000106A4: D1000083 00A30729
	v_cmp_lt_u32_e64 s[40:41], v240, v42                       // 0000000106AC: D0C90028 000255F0
	v_add_u32_e32 v240, 64, v240                               // 0000000106B4: 69E1E0C0
	s_nop 0                                                    // 0000000106B8: BF800000
	v_cndmask_b32_e64 v132, v41, v132, s[40:41]                // 0000000106BC: D1000084 00A30929
	v_cmp_lt_u32_e64 s[40:41], v241, v42                       // 0000000106C4: D0C90028 000255F1
	v_add_u32_e32 v241, 64, v241                               // 0000000106CC: 69E3E2C0
	s_nop 0                                                    // 0000000106D0: BF800000
	v_cndmask_b32_e64 v133, v41, v133, s[40:41]                // 0000000106D4: D1000085 00A30B29
	v_cmp_lt_u32_e64 s[40:41], v242, v42                       // 0000000106DC: D0C90028 000255F2
	v_add_u32_e32 v242, 64, v242                               // 0000000106E4: 69E5E4C0
	s_nop 0                                                    // 0000000106E8: BF800000
	v_cndmask_b32_e64 v134, v41, v134, s[40:41]                // 0000000106EC: D1000086 00A30D29
	v_cmp_lt_u32_e64 s[40:41], v243, v42                       // 0000000106F4: D0C90028 000255F3
	v_add_u32_e32 v243, 64, v243                               // 0000000106FC: 69E7E6C0
	s_nop 0                                                    // 000000010700: BF800000
	v_cndmask_b32_e64 v135, v41, v135, s[40:41]                // 000000010704: D1000087 00A30F29
	v_cmp_lt_u32_e64 s[40:41], v240, v42                       // 00000001070C: D0C90028 000255F0
	v_add_u32_e32 v240, 64, v240                               // 000000010714: 69E1E0C0
	s_nop 0                                                    // 000000010718: BF800000
	v_cndmask_b32_e64 v136, v41, v136, s[40:41]                // 00000001071C: D1000088 00A31129
	v_cmp_lt_u32_e64 s[40:41], v241, v42                       // 000000010724: D0C90028 000255F1
	v_add_u32_e32 v241, 64, v241                               // 00000001072C: 69E3E2C0
	s_nop 0                                                    // 000000010730: BF800000
	v_cndmask_b32_e64 v137, v41, v137, s[40:41]                // 000000010734: D1000089 00A31329
	v_cmp_lt_u32_e64 s[40:41], v242, v42                       // 00000001073C: D0C90028 000255F2
	v_add_u32_e32 v242, 64, v242                               // 000000010744: 69E5E4C0
	s_nop 0                                                    // 000000010748: BF800000
	v_cndmask_b32_e64 v138, v41, v138, s[40:41]                // 00000001074C: D100008A 00A31529
	v_cmp_lt_u32_e64 s[40:41], v243, v42                       // 000000010754: D0C90028 000255F3
	v_add_u32_e32 v243, 64, v243                               // 00000001075C: 69E7E6C0
	s_nop 0                                                    // 000000010760: BF800000
	v_cndmask_b32_e64 v139, v41, v139, s[40:41]                // 000000010764: D100008B 00A31729
	v_cmp_lt_u32_e64 s[40:41], v240, v42                       // 00000001076C: D0C90028 000255F0
	v_add_u32_e32 v240, 64, v240                               // 000000010774: 69E1E0C0
	s_nop 0                                                    // 000000010778: BF800000
	v_cndmask_b32_e64 v140, v41, v140, s[40:41]                // 00000001077C: D100008C 00A31929
	v_cmp_lt_u32_e64 s[40:41], v241, v42                       // 000000010784: D0C90028 000255F1
	v_add_u32_e32 v241, 64, v241                               // 00000001078C: 69E3E2C0
	s_nop 0                                                    // 000000010790: BF800000
	v_cndmask_b32_e64 v141, v41, v141, s[40:41]                // 000000010794: D100008D 00A31B29
	v_cmp_lt_u32_e64 s[40:41], v242, v42                       // 00000001079C: D0C90028 000255F2
	v_add_u32_e32 v242, 64, v242                               // 0000000107A4: 69E5E4C0
	s_nop 0                                                    // 0000000107A8: BF800000
	v_cndmask_b32_e64 v142, v41, v142, s[40:41]                // 0000000107AC: D100008E 00A31D29
	v_cmp_lt_u32_e64 s[40:41], v243, v42                       // 0000000107B4: D0C90028 000255F3
	v_add_u32_e32 v243, 64, v243                               // 0000000107BC: 69E7E6C0
	s_nop 0                                                    // 0000000107C0: BF800000
	v_cndmask_b32_e64 v143, v41, v143, s[40:41]                // 0000000107C4: D100008F 00A31F29
	v_mov_b32_e32 v62, v128                                    // 0000000107CC: 7E7C0380
	v_max3_f32 v62, v128, v129, v62                            // 0000000107D0: D1D3003E 04FB0380
	v_max3_f32 v62, v130, v131, v62                            // 0000000107D8: D1D3003E 04FB0782
	v_max3_f32 v62, v132, v133, v62                            // 0000000107E0: D1D3003E 04FB0B84
	v_max3_f32 v62, v134, v135, v62                            // 0000000107E8: D1D3003E 04FB0F86
	v_max3_f32 v62, v136, v137, v62                            // 0000000107F0: D1D3003E 04FB1388
	v_max3_f32 v62, v138, v139, v62                            // 0000000107F8: D1D3003E 04FB178A
	v_max3_f32 v62, v140, v141, v62                            // 000000010800: D1D3003E 04FB1B8C
	v_max3_f32 v62, v142, v143, v62                            // 000000010808: D1D3003E 04FB1F8E
	ds_write_b32 v11, v62 offset:16896                         // 000000010810: D81A4200 00003E0B
	v_mul_u32_u24_dpp v41, v20, v68 row_newbcast:1 row_mask:0xf bank_mask:0xf// 000000010818: 105288FA FF015114
	v_mul_u32_u24_dpp v42, v20, v68 row_newbcast:5 row_mask:0xf bank_mask:0xf// 000000010820: 105488FA FF015514
	v_mul_u32_u24_dpp v43, v20, v68 row_newbcast:9 row_mask:0xf bank_mask:0xf// 000000010828: 105688FA FF015914
	v_mul_u32_u24_dpp v44, v20, v68 row_newbcast:13 row_mask:0xf bank_mask:0xf// 000000010830: 105888FA FF015D14
	v_add_u32_e32 v37, v41, v7                                 // 000000010838: 684A0F29
	v_add_u32_e32 v38, v42, v7                                 // 00000001083C: 684C0F2A
	v_add_u32_e32 v39, v43, v7                                 // 000000010840: 684E0F2B
	v_add_u32_e32 v40, v44, v7                                 // 000000010844: 68500F2C
	v_mul_f32_e32 v224, v63, v224                              // 000000010848: 0BC1C13F
	v_mul_f32_e32 v225, v63, v225                              // 00000001084C: 0BC3C33F
	v_mul_f32_e32 v226, v63, v226                              // 000000010850: 0BC5C53F
	v_mul_f32_e32 v227, v63, v227                              // 000000010854: 0BC7C73F
	v_mul_f32_e32 v228, v63, v228                              // 000000010858: 0BC9C93F
	v_mul_f32_e32 v229, v63, v229                              // 00000001085C: 0BCBCB3F
	v_mul_f32_e32 v230, v63, v230                              // 000000010860: 0BCDCD3F
	v_mul_f32_e32 v231, v63, v231                              // 000000010864: 0BCFCF3F
	s_waitcnt lgkmcnt(0)                                       // 000000010868: BF8CC07F
	s_barrier                                                  // 00000001086C: BF8A0000
	ds_read_b32 v80, v10 offset:16896                          // 000000010870: D86C4200 5000000A
	ds_read_b32 v81, v10 offset:16960                          // 000000010878: D86C4240 5100000A
	ds_read_b32 v82, v10 offset:17024                          // 000000010880: D86C4280 5200000A
	ds_read_b32 v83, v10 offset:17088                          // 000000010888: D86C42C0 5300000A
	ds_read_b32 v84, v10 offset:17152                          // 000000010890: D86C4300 5400000A
	ds_read_b32 v85, v10 offset:17216                          // 000000010898: D86C4340 5500000A
	ds_read_b32 v86, v10 offset:17280                          // 0000000108A0: D86C4380 5600000A
	ds_read_b32 v87, v10 offset:17344                          // 0000000108A8: D86C43C0 5700000A
	ds_read_b32 v88, v10 offset:17408                          // 0000000108B0: D86C4400 5800000A
	ds_read_b32 v89, v10 offset:17472                          // 0000000108B8: D86C4440 5900000A
	ds_read_b32 v90, v10 offset:17536                          // 0000000108C0: D86C4480 5A00000A
	ds_read_b32 v91, v10 offset:17600                          // 0000000108C8: D86C44C0 5B00000A
	ds_read_b32 v92, v10 offset:17664                          // 0000000108D0: D86C4500 5C00000A
	ds_read_b32 v93, v10 offset:17728                          // 0000000108D8: D86C4540 5D00000A
	ds_read_b32 v94, v10 offset:17792                          // 0000000108E0: D86C4580 5E00000A
	ds_read_b32 v95, v10 offset:17856                          // 0000000108E8: D86C45C0 5F00000A
	v_mul_f32_e32 v192, v58, v192                              // 0000000108F0: 0B81813A
	v_mul_f32_e32 v193, v58, v193                              // 0000000108F4: 0B83833A
	v_mul_f32_e32 v194, v58, v194                              // 0000000108F8: 0B85853A
	v_mul_f32_e32 v195, v58, v195                              // 0000000108FC: 0B87873A
	v_mul_f32_e32 v196, v58, v196                              // 000000010900: 0B89893A
	v_mul_f32_e32 v197, v58, v197                              // 000000010904: 0B8B8B3A
	v_mul_f32_e32 v198, v58, v198                              // 000000010908: 0B8D8D3A
	v_mul_f32_e32 v199, v58, v199                              // 00000001090C: 0B8F8F3A
	s_waitcnt lgkmcnt(0)                                       // 000000010910: BF8CC07F
	v_max3_f32 v62, v80, v81, v62                              // 000000010914: D1D3003E 04FAA350
	v_max3_f32 v62, v82, v83, v62                              // 00000001091C: D1D3003E 04FAA752
	v_max3_f32 v62, v84, v85, v62                              // 000000010924: D1D3003E 04FAAB54
	v_max3_f32 v62, v86, v87, v62                              // 00000001092C: D1D3003E 04FAAF56
	v_max3_f32 v62, v88, v89, v62                              // 000000010934: D1D3003E 04FAB358
	v_max3_f32 v62, v90, v91, v62                              // 00000001093C: D1D3003E 04FAB75A
	v_max3_f32 v62, v92, v93, v62                              // 000000010944: D1D3003E 04FABB5C
	v_max3_f32 v62, v94, v95, v62                              // 00000001094C: D1D3003E 04FABF5E
	v_mov_b32_e32 v41, 0xff800000                              // 000000010954: 7E5202FF FF800000
	v_cmp_eq_u32_e64 s[40:41], v41, v14                        // 00000001095C: D0CA0028 00021D29
	s_nop 1                                                    // 000000010964: BF800001
	v_max_f32_e32 v18, v62, v14                                // 000000010968: 16241D3E
	v_mul_f32_e32 v67, s64, v18                                // 00000001096C: 0A862440
	v_fma_f32 v128, v128, s64, -v67                            // 000000010970: D1CB0080 850C8180
	v_fma_f32 v129, v129, s64, -v67                            // 000000010978: D1CB0081 850C8181
	v_fma_f32 v130, v130, s64, -v67                            // 000000010980: D1CB0082 850C8182
	v_fma_f32 v131, v131, s64, -v67                            // 000000010988: D1CB0083 850C8183
	v_fma_f32 v132, v132, s64, -v67                            // 000000010990: D1CB0084 850C8184
	v_fma_f32 v133, v133, s64, -v67                            // 000000010998: D1CB0085 850C8185
	v_fma_f32 v134, v134, s64, -v67                            // 0000000109A0: D1CB0086 850C8186
	v_fma_f32 v135, v135, s64, -v67                            // 0000000109A8: D1CB0087 850C8187
	v_fma_f32 v136, v136, s64, -v67                            // 0000000109B0: D1CB0088 850C8188
	v_fma_f32 v137, v137, s64, -v67                            // 0000000109B8: D1CB0089 850C8189
	v_fma_f32 v138, v138, s64, -v67                            // 0000000109C0: D1CB008A 850C818A
	v_fma_f32 v139, v139, s64, -v67                            // 0000000109C8: D1CB008B 850C818B
	v_fma_f32 v140, v140, s64, -v67                            // 0000000109D0: D1CB008C 850C818C
	v_fma_f32 v141, v141, s64, -v67                            // 0000000109D8: D1CB008D 850C818D
	v_fma_f32 v142, v142, s64, -v67                            // 0000000109E0: D1CB008E 850C818E
	v_fma_f32 v143, v143, s64, -v67                            // 0000000109E8: D1CB008F 850C818F
	v_exp_f32_e32 v128, v128                                   // 0000000109F0: 7F004180
	v_exp_f32_e32 v129, v129                                   // 0000000109F4: 7F024181
	v_exp_f32_e32 v130, v130                                   // 0000000109F8: 7F044182
	v_exp_f32_e32 v131, v131                                   // 0000000109FC: 7F064183
	v_exp_f32_e32 v132, v132                                   // 000000010A00: 7F084184
	v_exp_f32_e32 v133, v133                                   // 000000010A04: 7F0A4185
	v_exp_f32_e32 v134, v134                                   // 000000010A08: 7F0C4186
	v_exp_f32_e32 v135, v135                                   // 000000010A0C: 7F0E4187
	v_exp_f32_e32 v136, v136                                   // 000000010A10: 7F104188
	v_exp_f32_e32 v137, v137                                   // 000000010A14: 7F124189
	v_exp_f32_e32 v138, v138                                   // 000000010A18: 7F14418A
	v_exp_f32_e32 v139, v139                                   // 000000010A1C: 7F16418B
	v_exp_f32_e32 v140, v140                                   // 000000010A20: 7F18418C
	v_exp_f32_e32 v141, v141                                   // 000000010A24: 7F1A418D
	v_exp_f32_e32 v142, v142                                   // 000000010A28: 7F1C418E
	v_exp_f32_e32 v143, v143                                   // 000000010A2C: 7F1E418F
	v_mul_f32_dpp v240, v252, v128 quad_perm:[0,0,0,0] row_mask:0xf bank_mask:0xf// 000000010A30: 0BE100FA FF0000FC
	v_mul_f32_dpp v241, v252, v129 quad_perm:[1,1,1,1] row_mask:0xf bank_mask:0xf// 000000010A38: 0BE302FA FF0055FC
	v_mul_f32_dpp v242, v252, v130 quad_perm:[2,2,2,2] row_mask:0xf bank_mask:0xf// 000000010A40: 0BE504FA FF00AAFC
	v_mul_f32_dpp v243, v252, v131 quad_perm:[3,3,3,3] row_mask:0xf bank_mask:0xf// 000000010A48: 0BE706FA FF00FFFC
	v_mul_f32_dpp v244, v253, v132 quad_perm:[0,0,0,0] row_mask:0xf bank_mask:0xf// 000000010A50: 0BE908FA FF0000FD
	v_mul_f32_dpp v245, v253, v133 quad_perm:[1,1,1,1] row_mask:0xf bank_mask:0xf// 000000010A58: 0BEB0AFA FF0055FD
	v_mul_f32_dpp v246, v253, v134 quad_perm:[2,2,2,2] row_mask:0xf bank_mask:0xf// 000000010A60: 0BED0CFA FF00AAFD
	v_mul_f32_dpp v247, v253, v135 quad_perm:[3,3,3,3] row_mask:0xf bank_mask:0xf// 000000010A68: 0BEF0EFA FF00FFFD
	v_mul_f32_dpp v248, v254, v136 quad_perm:[0,0,0,0] row_mask:0xf bank_mask:0xf// 000000010A70: 0BF110FA FF0000FE
	v_mul_f32_dpp v249, v254, v137 quad_perm:[1,1,1,1] row_mask:0xf bank_mask:0xf// 000000010A78: 0BF312FA FF0055FE
	v_mul_f32_dpp v250, v254, v138 quad_perm:[2,2,2,2] row_mask:0xf bank_mask:0xf// 000000010A80: 0BF514FA FF00AAFE
	v_mul_f32_dpp v251, v254, v139 quad_perm:[3,3,3,3] row_mask:0xf bank_mask:0xf// 000000010A88: 0BF716FA FF00FFFE
	v_mul_f32_dpp v252, v255, v140 quad_perm:[0,0,0,0] row_mask:0xf bank_mask:0xf// 000000010A90: 0BF918FA FF0000FF
	v_mul_f32_dpp v253, v255, v141 quad_perm:[1,1,1,1] row_mask:0xf bank_mask:0xf// 000000010A98: 0BFB1AFA FF0055FF
	v_mul_f32_dpp v254, v255, v142 quad_perm:[2,2,2,2] row_mask:0xf bank_mask:0xf// 000000010AA0: 0BFD1CFA FF00AAFF
	v_mul_f32_dpp v255, v255, v143 quad_perm:[3,3,3,3] row_mask:0xf bank_mask:0xf// 000000010AA8: 0BFF1EFA FF00FFFF
	v_mov_b32_e32 v62, 0x358637bd                              // 000000010AB0: 7E7C02FF 358637BD
	v_max3_f32 v62, |v240|, |v241|, v62                        // 000000010AB8: D1D3033E 04FBE3F0
	v_max3_f32 v62, |v242|, |v243|, v62                        // 000000010AC0: D1D3033E 04FBE7F2
	v_max3_f32 v62, |v244|, |v245|, v62                        // 000000010AC8: D1D3033E 04FBEBF4
	v_max3_f32 v62, |v246|, |v247|, v62                        // 000000010AD0: D1D3033E 04FBEFF6
	v_max3_f32 v62, |v248|, |v249|, v62                        // 000000010AD8: D1D3033E 04FBF3F8
	v_max3_f32 v62, |v250|, |v251|, v62                        // 000000010AE0: D1D3033E 04FBF7FA
	v_max3_f32 v62, |v252|, |v253|, v62                        // 000000010AE8: D1D3033E 04FBFBFC
	v_max3_f32 v62, |v254|, |v255|, v62                        // 000000010AF0: D1D3033E 04FBFFFE
	ds_write_b32 v11, v62 offset:20992                         // 000000010AF8: D81A5200 00003E0B
	v_sub_f32_e32 v63, v14, v18                                // 000000010B00: 047E250E
	v_cndmask_b32_e64 v63, v63, 0, s[40:41]                    // 000000010B04: D100003F 00A1013F
	v_mov_b32_e32 v14, v18                                     // 000000010B0C: 7E1C0312
	v_mul_f32_e32 v63, s64, v63                                // 000000010B10: 0A7E7E40
	v_exp_f32_e32 v63, v63                                     // 000000010B14: 7E7E413F
	s_waitcnt lgkmcnt(0)                                       // 000000010B18: BF8CC07F
	s_barrier                                                  // 000000010B1C: BF8A0000
	ds_read_b32 v80, v10 offset:20992                          // 000000010B20: D86C5200 5000000A
	ds_read_b32 v81, v10 offset:21056                          // 000000010B28: D86C5240 5100000A
	ds_read_b32 v82, v10 offset:21120                          // 000000010B30: D86C5280 5200000A
	ds_read_b32 v83, v10 offset:21184                          // 000000010B38: D86C52C0 5300000A
	ds_read_b32 v84, v10 offset:21248                          // 000000010B40: D86C5300 5400000A
	ds_read_b32 v85, v10 offset:21312                          // 000000010B48: D86C5340 5500000A
	ds_read_b32 v86, v10 offset:21376                          // 000000010B50: D86C5380 5600000A
	ds_read_b32 v87, v10 offset:21440                          // 000000010B58: D86C53C0 5700000A
	ds_read_b32 v88, v10 offset:21504                          // 000000010B60: D86C5400 5800000A
	ds_read_b32 v89, v10 offset:21568                          // 000000010B68: D86C5440 5900000A
	ds_read_b32 v90, v10 offset:21632                          // 000000010B70: D86C5480 5A00000A
	ds_read_b32 v91, v10 offset:21696                          // 000000010B78: D86C54C0 5B00000A
	ds_read_b32 v92, v10 offset:21760                          // 000000010B80: D86C5500 5C00000A
	ds_read_b32 v93, v10 offset:21824                          // 000000010B88: D86C5540 5D00000A
	ds_read_b32 v94, v10 offset:21888                          // 000000010B90: D86C5580 5E00000A
	ds_read_b32 v95, v10 offset:21952                          // 000000010B98: D86C55C0 5F00000A
	v_mul_f32_e32 v47, v63, v47                                // 000000010BA0: 0A5E5F3F
	v_mov_b32_e32 v18, v128                                    // 000000010BA4: 7E240380
	v_add_f32_e32 v18, v129, v18                               // 000000010BA8: 02242581
	v_add_f32_e32 v18, v130, v18                               // 000000010BAC: 02242582
	v_add_f32_e32 v18, v131, v18                               // 000000010BB0: 02242583
	v_add_f32_e32 v18, v132, v18                               // 000000010BB4: 02242584
	v_add_f32_e32 v18, v133, v18                               // 000000010BB8: 02242585
	v_add_f32_e32 v18, v134, v18                               // 000000010BBC: 02242586
	v_add_f32_e32 v18, v135, v18                               // 000000010BC0: 02242587
	v_add_f32_e32 v18, v136, v18                               // 000000010BC4: 02242588
	v_add_f32_e32 v18, v137, v18                               // 000000010BC8: 02242589
	v_add_f32_e32 v18, v138, v18                               // 000000010BCC: 0224258A
	v_add_f32_e32 v18, v139, v18                               // 000000010BD0: 0224258B
	v_add_f32_e32 v18, v140, v18                               // 000000010BD4: 0224258C
	v_add_f32_e32 v18, v141, v18                               // 000000010BD8: 0224258D
	v_add_f32_e32 v18, v142, v18                               // 000000010BDC: 0224258E
	v_add_f32_e32 v18, v143, v18                               // 000000010BE0: 0224258F
	v_add_f32_e32 v47, v18, v47                                // 000000010BE4: 025E5F12
	s_waitcnt lgkmcnt(0)                                       // 000000010BE8: BF8CC07F
	v_max3_f32 v62, |v80|, |v81|, v62                          // 000000010BEC: D1D3033E 04FAA350
	v_max3_f32 v62, |v82|, |v83|, v62                          // 000000010BF4: D1D3033E 04FAA752
	v_max3_f32 v62, |v84|, |v85|, v62                          // 000000010BFC: D1D3033E 04FAAB54
	v_max3_f32 v62, |v86|, |v87|, v62                          // 000000010C04: D1D3033E 04FAAF56
	v_max3_f32 v62, |v88|, |v89|, v62                          // 000000010C0C: D1D3033E 04FAB358
	v_max3_f32 v62, |v90|, |v91|, v62                          // 000000010C14: D1D3033E 04FAB75A
	v_max3_f32 v62, |v92|, |v93|, v62                          // 000000010C1C: D1D3033E 04FABB5C
	v_max3_f32 v62, |v94|, |v95|, v62                          // 000000010C24: D1D3033E 04FABF5E
	s_nop 2                                                    // 000000010C2C: BF800002
	v_rcp_f32_e32 v62, v62                                     // 000000010C30: 7E7C453E
	s_nop 1                                                    // 000000010C34: BF800001
	v_mul_f32_e32 v62, 0x43e00000, v62                         // 000000010C38: 0A7C7CFF 43E00000
	v_mul_f32_e32 v128, v62, v240                              // 000000010C40: 0B01E13E
	v_mul_f32_e32 v129, v62, v241                              // 000000010C44: 0B03E33E
	v_mul_f32_e32 v130, v62, v242                              // 000000010C48: 0B05E53E
	v_mul_f32_e32 v131, v62, v243                              // 000000010C4C: 0B07E73E
	v_mul_f32_e32 v132, v62, v244                              // 000000010C50: 0B09E93E
	v_mul_f32_e32 v133, v62, v245                              // 000000010C54: 0B0BEB3E
	v_mul_f32_e32 v134, v62, v246                              // 000000010C58: 0B0DED3E
	v_mul_f32_e32 v135, v62, v247                              // 000000010C5C: 0B0FEF3E
	v_mul_f32_e32 v136, v62, v248                              // 000000010C60: 0B11F13E
	v_mul_f32_e32 v137, v62, v249                              // 000000010C64: 0B13F33E
	v_mul_f32_e32 v138, v62, v250                              // 000000010C68: 0B15F53E
	v_mul_f32_e32 v139, v62, v251                              // 000000010C6C: 0B17F73E
	v_mul_f32_e32 v140, v62, v252                              // 000000010C70: 0B19F93E
	v_mul_f32_e32 v141, v62, v253                              // 000000010C74: 0B1BFB3E
	v_mul_f32_e32 v142, v62, v254                              // 000000010C78: 0B1DFD3E
	v_mul_f32_e32 v143, v62, v255                              // 000000010C7C: 0B1FFF3E
	v_cvt_pk_fp8_f32 v128, v128, v129                          // 000000010C80: D2A20080 00030380
	v_cvt_pk_fp8_f32 v128, v130, v131 op_sel:[0,0,1]           // 000000010C88: D2A24080 00030782
	v_cvt_pk_fp8_f32 v129, v132, v133                          // 000000010C90: D2A20081 00030B84
	v_cvt_pk_fp8_f32 v129, v134, v135 op_sel:[0,0,1]           // 000000010C98: D2A24081 00030F86
	v_cvt_pk_fp8_f32 v130, v136, v137                          // 000000010CA0: D2A20082 00031388
	v_cvt_pk_fp8_f32 v130, v138, v139 op_sel:[0,0,1]           // 000000010CA8: D2A24082 0003178A
	v_cvt_pk_fp8_f32 v131, v140, v141                          // 000000010CB0: D2A20083 00031B8C
	v_cvt_pk_fp8_f32 v131, v142, v143 op_sel:[0,0,1]           // 000000010CB8: D2A24083 00031F8E
	ds_write_b32 v13, v128 offset:25088                        // 000000010CC0: D81A6200 0000800D
	ds_write_b32 v13, v129 offset:26112                        // 000000010CC8: D81A6600 0000810D
	ds_write_b32 v13, v130 offset:27136                        // 000000010CD0: D81A6A00 0000820D
	ds_write_b32 v13, v131 offset:28160                        // 000000010CD8: D81A6E00 0000830D
	v_add_f32_e32 v224, v224, v192                             // 000000010CE0: 03C181E0
	v_add_f32_e32 v225, v225, v193                             // 000000010CE4: 03C383E1
	v_add_f32_e32 v226, v226, v194                             // 000000010CE8: 03C585E2
	v_add_f32_e32 v227, v227, v195                             // 000000010CEC: 03C787E3
	v_add_f32_e32 v228, v228, v196                             // 000000010CF0: 03C989E4
	v_add_f32_e32 v229, v229, v197                             // 000000010CF4: 03CB8BE5
	v_add_f32_e32 v230, v230, v198                             // 000000010CF8: 03CD8DE6
	v_add_f32_e32 v231, v231, v199                             // 000000010CFC: 03CF8FE7
	v_rcp_f32_e32 v58, v62                                     // 000000010D00: 7E74453E
	s_waitcnt lgkmcnt(0)                                       // 000000010D04: BF8CC07F
	s_barrier                                                  // 000000010D08: BF8A0000
	ds_read_b64 v[128:129], v12 offset:25088                   // 000000010D0C: D8EC6200 8000000C
	ds_read_b64 v[130:131], v12 offset:25216                   // 000000010D14: D8EC6280 8200000C
	ds_read_b64 v[132:133], v12 offset:26112                   // 000000010D1C: D8EC6600 8400000C
	ds_read_b64 v[134:135], v12 offset:26240                   // 000000010D24: D8EC6680 8600000C
	ds_read_b64 v[136:137], v12 offset:27136                   // 000000010D2C: D8EC6A00 8800000C
	ds_read_b64 v[138:139], v12 offset:27264                   // 000000010D34: D8EC6A80 8A00000C
	ds_read_b64 v[140:141], v12 offset:28160                   // 000000010D3C: D8EC6E00 8C00000C
	ds_read_b64 v[142:143], v12 offset:28288                   // 000000010D44: D8EC6E80 8E00000C
	v_mov_b32_dpp v41, v52 row_shr:4 row_mask:0xf bank_mask:0xf// 000000010D4C: 7E5202FA FF011434
	v_mov_b32_dpp v42, v52 row_shl:4 row_mask:0xf bank_mask:0xf// 000000010D54: 7E5402FA FF010434
	v_cndmask_b32_e64 v248, v52, v41, s[44:45]                 // 000000010D5C: D10000F8 00B25334
	v_cndmask_b32_e64 v249, v42, v52, s[44:45]                 // 000000010D64: D10000F9 00B2692A
	v_mov_b32_dpp v41, v248 row_shr:8 row_mask:0xf bank_mask:0xf// 000000010D6C: 7E5202FA FF0118F8
	v_mov_b32_dpp v42, v248 row_shl:8 row_mask:0xf bank_mask:0xf// 000000010D74: 7E5402FA FF0108F8
	v_mov_b32_dpp v43, v249 row_shr:8 row_mask:0xf bank_mask:0xf// 000000010D7C: 7E5602FA FF0118F9
	v_mov_b32_dpp v44, v249 row_shl:8 row_mask:0xf bank_mask:0xf// 000000010D84: 7E5802FA FF0108F9
	v_mov_b32_e32 v45, v248                                    // 000000010D8C: 7E5A03F8
	v_mov_b32_e32 v46, v249                                    // 000000010D90: 7E5C03F9
	v_cndmask_b32_e64 v248, v45, v41, s[42:43]                 // 000000010D94: D10000F8 00AA532D
	v_cndmask_b32_e64 v250, v45, v42, s[78:79]                 // 000000010D9C: D10000FA 013A552D
	v_cndmask_b32_e64 v249, v46, v43, s[42:43]                 // 000000010DA4: D10000F9 00AA572E
	v_cndmask_b32_e64 v251, v46, v44, s[78:79]                 // 000000010DAC: D10000FB 013A592E
	v_mov_b32_dpp v41, v72 row_shr:4 row_mask:0xf bank_mask:0xf// 000000010DB4: 7E5202FA FF011448
	v_mov_b32_dpp v42, v72 row_shl:4 row_mask:0xf bank_mask:0xf// 000000010DBC: 7E5402FA FF010448
	v_cndmask_b32_e64 v252, v72, v41, s[44:45]                 // 000000010DC4: D10000FC 00B25348
	v_cndmask_b32_e64 v253, v42, v72, s[44:45]                 // 000000010DCC: D10000FD 00B2912A
	v_mov_b32_dpp v41, v252 row_shr:8 row_mask:0xf bank_mask:0xf// 000000010DD4: 7E5202FA FF0118FC
	v_mov_b32_dpp v42, v252 row_shl:8 row_mask:0xf bank_mask:0xf// 000000010DDC: 7E5402FA FF0108FC
	v_mov_b32_dpp v43, v253 row_shr:8 row_mask:0xf bank_mask:0xf// 000000010DE4: 7E5602FA FF0118FD
	v_mov_b32_dpp v44, v253 row_shl:8 row_mask:0xf bank_mask:0xf// 000000010DEC: 7E5802FA FF0108FD
	v_mov_b32_e32 v45, v252                                    // 000000010DF4: 7E5A03FC
	v_mov_b32_e32 v46, v253                                    // 000000010DF8: 7E5C03FD
	v_cndmask_b32_e64 v252, v45, v41, s[42:43]                 // 000000010DFC: D10000FC 00AA532D
	v_cndmask_b32_e64 v254, v45, v42, s[78:79]                 // 000000010E04: D10000FE 013A552D
	v_cndmask_b32_e64 v253, v46, v43, s[42:43]                 // 000000010E0C: D10000FD 00AA572E
	v_cndmask_b32_e64 v255, v46, v44, s[78:79]                 // 000000010E14: D10000FF 013A592E
	v_mul_f32_e32 v144, v55, v144                              // 000000010E1C: 0B212137
	v_mul_f32_e32 v145, v55, v145                              // 000000010E20: 0B232337
	v_mul_f32_e32 v146, v55, v146                              // 000000010E24: 0B252537
	v_mul_f32_e32 v147, v55, v147                              // 000000010E28: 0B272737
	v_mul_f32_e32 v148, v55, v148                              // 000000010E2C: 0B292937
	v_mul_f32_e32 v149, v55, v149                              // 000000010E30: 0B2B2B37
	v_mul_f32_e32 v150, v55, v150                              // 000000010E34: 0B2D2D37
	v_mul_f32_e32 v151, v55, v151                              // 000000010E38: 0B2F2F37
	v_mul_f32_e32 v152, v55, v152                              // 000000010E3C: 0B313137
	v_mul_f32_e32 v153, v55, v153                              // 000000010E40: 0B333337
	v_mul_f32_e32 v154, v55, v154                              // 000000010E44: 0B353537
	v_mul_f32_e32 v155, v55, v155                              // 000000010E48: 0B373737
	v_mul_f32_e32 v156, v55, v156                              // 000000010E4C: 0B393937
	v_mul_f32_e32 v157, v55, v157                              // 000000010E50: 0B3B3B37
	v_mul_f32_e32 v158, v55, v158                              // 000000010E54: 0B3D3D37
	v_mul_f32_e32 v159, v55, v159                              // 000000010E58: 0B3F3F37
	v_mul_f32_dpp v144, v248, v144 quad_perm:[0,0,0,0] row_mask:0xf bank_mask:0xf// 000000010E5C: 0B2120FA FF0000F8
	v_mul_f32_dpp v145, v248, v145 quad_perm:[1,1,1,1] row_mask:0xf bank_mask:0xf// 000000010E64: 0B2322FA FF0055F8
	v_mul_f32_dpp v146, v248, v146 quad_perm:[2,2,2,2] row_mask:0xf bank_mask:0xf// 000000010E6C: 0B2524FA FF00AAF8
	v_mul_f32_dpp v147, v248, v147 quad_perm:[3,3,3,3] row_mask:0xf bank_mask:0xf// 000000010E74: 0B2726FA FF00FFF8
	v_mul_f32_dpp v148, v249, v148 quad_perm:[0,0,0,0] row_mask:0xf bank_mask:0xf// 000000010E7C: 0B2928FA FF0000F9
	v_mul_f32_dpp v149, v249, v149 quad_perm:[1,1,1,1] row_mask:0xf bank_mask:0xf// 000000010E84: 0B2B2AFA FF0055F9
	v_mul_f32_dpp v150, v249, v150 quad_perm:[2,2,2,2] row_mask:0xf bank_mask:0xf// 000000010E8C: 0B2D2CFA FF00AAF9
	v_mul_f32_dpp v151, v249, v151 quad_perm:[3,3,3,3] row_mask:0xf bank_mask:0xf// 000000010E94: 0B2F2EFA FF00FFF9
	v_mul_f32_dpp v152, v250, v152 quad_perm:[0,0,0,0] row_mask:0xf bank_mask:0xf// 000000010E9C: 0B3130FA FF0000FA
	v_mul_f32_dpp v153, v250, v153 quad_perm:[1,1,1,1] row_mask:0xf bank_mask:0xf// 000000010EA4: 0B3332FA FF0055FA
	v_mul_f32_dpp v154, v250, v154 quad_perm:[2,2,2,2] row_mask:0xf bank_mask:0xf// 000000010EAC: 0B3534FA FF00AAFA
	v_mul_f32_dpp v155, v250, v155 quad_perm:[3,3,3,3] row_mask:0xf bank_mask:0xf// 000000010EB4: 0B3736FA FF00FFFA
	v_mul_f32_dpp v156, v251, v156 quad_perm:[0,0,0,0] row_mask:0xf bank_mask:0xf// 000000010EBC: 0B3938FA FF0000FB
	v_mul_f32_dpp v157, v251, v157 quad_perm:[1,1,1,1] row_mask:0xf bank_mask:0xf// 000000010EC4: 0B3B3AFA FF0055FB
	v_mul_f32_dpp v158, v251, v158 quad_perm:[2,2,2,2] row_mask:0xf bank_mask:0xf// 000000010ECC: 0B3D3CFA FF00AAFB
	v_mul_f32_dpp v159, v251, v159 quad_perm:[3,3,3,3] row_mask:0xf bank_mask:0xf// 000000010ED4: 0B3F3EFA FF00FFFB
	s_cmp_le_i32 s90, s89                                      // 000000010EDC: BF05595A
	s_cbranch_scc1 label_3BAC                                  // 000000010EE0: BF850073
	v_mov_b32_e32 v69, 0xff800000                              // 000000010EE4: 7E8A02FF FF800000
	s_mov_b32 s60, s90                                         // 000000010EEC: BEBC005A
	s_add_u32 s61, s89, 0xff                                   // 000000010EF0: 803DFF59 000000FF
	v_mov_b32_e32 v41, s61                                     // 000000010EF8: 7E52023D
	v_lshrrev_b32_e32 v240, 4, v0                              // 000000010EFC: 21E00084
	v_mul_i32_i24_e32 v240, 4, v240                            // 000000010F00: 0DE1E084
	v_add_u32_e32 v240, s60, v240                              // 000000010F04: 69E1E03C
	v_and_b32_e32 v42, 15, v0                                  // 000000010F08: 2654008F
	v_lshrrev_b32_e32 v42, 3, v42                              // 000000010F0C: 20545483
	s_mov_b32 s61, 2                                           // 000000010F10: BEBD0082
	s_mul_i32 s60, 16, s7                                      // 000000010F14: 923C0790
	v_add_u32_e32 v42, s61, v42                                // 000000010F18: 6854543D
	v_sub_u32_e32 v240, v240, v42                              // 000000010F1C: 6BE055F0
	v_add_u32_e32 v240, s60, v240                              // 000000010F20: 69E1E03C
	v_add_u32_e32 v241, 1, v240                                // 000000010F24: 69E3E081
	v_add_u32_e32 v242, 2, v240                                // 000000010F28: 69E5E082
	v_add_u32_e32 v243, 3, v240                                // 000000010F2C: 69E7E083
	v_cmp_le_u32_e64 s[40:41], v240, v41                       // 000000010F30: D0CB0028 000253F0
	v_add_u32_e32 v240, 64, v240                               // 000000010F38: 69E1E0C0
	s_nop 0                                                    // 000000010F3C: BF800000
	v_cndmask_b32_e64 v144, v69, v144, s[40:41]                // 000000010F40: D1000090 00A32145
	v_cmp_le_u32_e64 s[40:41], v241, v41                       // 000000010F48: D0CB0028 000253F1
	v_add_u32_e32 v241, 64, v241                               // 000000010F50: 69E3E2C0
	s_nop 0                                                    // 000000010F54: BF800000
	v_cndmask_b32_e64 v145, v69, v145, s[40:41]                // 000000010F58: D1000091 00A32345
	v_cmp_le_u32_e64 s[40:41], v242, v41                       // 000000010F60: D0CB0028 000253F2
	v_add_u32_e32 v242, 64, v242                               // 000000010F68: 69E5E4C0
	s_nop 0                                                    // 000000010F6C: BF800000
	v_cndmask_b32_e64 v146, v69, v146, s[40:41]                // 000000010F70: D1000092 00A32545
	v_cmp_le_u32_e64 s[40:41], v243, v41                       // 000000010F78: D0CB0028 000253F3
	v_add_u32_e32 v243, 64, v243                               // 000000010F80: 69E7E6C0
	s_nop 0                                                    // 000000010F84: BF800000
	v_cndmask_b32_e64 v147, v69, v147, s[40:41]                // 000000010F88: D1000093 00A32745
	v_cmp_le_u32_e64 s[40:41], v240, v41                       // 000000010F90: D0CB0028 000253F0
	v_add_u32_e32 v240, 64, v240                               // 000000010F98: 69E1E0C0
	s_nop 0                                                    // 000000010F9C: BF800000
	v_cndmask_b32_e64 v148, v69, v148, s[40:41]                // 000000010FA0: D1000094 00A32945
	v_cmp_le_u32_e64 s[40:41], v241, v41                       // 000000010FA8: D0CB0028 000253F1
	v_add_u32_e32 v241, 64, v241                               // 000000010FB0: 69E3E2C0
	s_nop 0                                                    // 000000010FB4: BF800000
	v_cndmask_b32_e64 v149, v69, v149, s[40:41]                // 000000010FB8: D1000095 00A32B45
	v_cmp_le_u32_e64 s[40:41], v242, v41                       // 000000010FC0: D0CB0028 000253F2
	v_add_u32_e32 v242, 64, v242                               // 000000010FC8: 69E5E4C0
	s_nop 0                                                    // 000000010FCC: BF800000
	v_cndmask_b32_e64 v150, v69, v150, s[40:41]                // 000000010FD0: D1000096 00A32D45
	v_cmp_le_u32_e64 s[40:41], v243, v41                       // 000000010FD8: D0CB0028 000253F3
	v_add_u32_e32 v243, 64, v243                               // 000000010FE0: 69E7E6C0
	s_nop 0                                                    // 000000010FE4: BF800000
	v_cndmask_b32_e64 v151, v69, v151, s[40:41]                // 000000010FE8: D1000097 00A32F45
	v_cmp_le_u32_e64 s[40:41], v240, v41                       // 000000010FF0: D0CB0028 000253F0
	v_add_u32_e32 v240, 64, v240                               // 000000010FF8: 69E1E0C0
	s_nop 0                                                    // 000000010FFC: BF800000
	v_cndmask_b32_e64 v152, v69, v152, s[40:41]                // 000000011000: D1000098 00A33145
	v_cmp_le_u32_e64 s[40:41], v241, v41                       // 000000011008: D0CB0028 000253F1
	v_add_u32_e32 v241, 64, v241                               // 000000011010: 69E3E2C0
	s_nop 0                                                    // 000000011014: BF800000
	v_cndmask_b32_e64 v153, v69, v153, s[40:41]                // 000000011018: D1000099 00A33345
	v_cmp_le_u32_e64 s[40:41], v242, v41                       // 000000011020: D0CB0028 000253F2
	v_add_u32_e32 v242, 64, v242                               // 000000011028: 69E5E4C0
	s_nop 0                                                    // 00000001102C: BF800000
	v_cndmask_b32_e64 v154, v69, v154, s[40:41]                // 000000011030: D100009A 00A33545
	v_cmp_le_u32_e64 s[40:41], v243, v41                       // 000000011038: D0CB0028 000253F3
	v_add_u32_e32 v243, 64, v243                               // 000000011040: 69E7E6C0
	s_nop 0                                                    // 000000011044: BF800000
	v_cndmask_b32_e64 v155, v69, v155, s[40:41]                // 000000011048: D100009B 00A33745
	v_cmp_le_u32_e64 s[40:41], v240, v41                       // 000000011050: D0CB0028 000253F0
	v_add_u32_e32 v240, 64, v240                               // 000000011058: 69E1E0C0
	s_nop 0                                                    // 00000001105C: BF800000
	v_cndmask_b32_e64 v156, v69, v156, s[40:41]                // 000000011060: D100009C 00A33945
	v_cmp_le_u32_e64 s[40:41], v241, v41                       // 000000011068: D0CB0028 000253F1
	v_add_u32_e32 v241, 64, v241                               // 000000011070: 69E3E2C0
	s_nop 0                                                    // 000000011074: BF800000
	v_cndmask_b32_e64 v157, v69, v157, s[40:41]                // 000000011078: D100009D 00A33B45
	v_cmp_le_u32_e64 s[40:41], v242, v41                       // 000000011080: D0CB0028 000253F2
	v_add_u32_e32 v242, 64, v242                               // 000000011088: 69E5E4C0
	s_nop 0                                                    // 00000001108C: BF800000
	v_cndmask_b32_e64 v158, v69, v158, s[40:41]                // 000000011090: D100009E 00A33D45
	v_cmp_le_u32_e64 s[40:41], v243, v41                       // 000000011098: D0CB0028 000253F3
	v_add_u32_e32 v243, 64, v243                               // 0000000110A0: 69E7E6C0
	s_nop 0                                                    // 0000000110A4: BF800000
	v_cndmask_b32_e64 v159, v69, v159, s[40:41]                // 0000000110A8: D100009F 00A33F45

00000000000110b0 <label_3BAC>:
	s_add_u32 s90, s91, s90                                    // 0000000110B0: 805A5A5B
	s_and_b32 s60, s72, 0xff                                   // 0000000110B4: 863CFF48 000000FF
	v_mov_b32_e32 v42, s60                                     // 0000000110BC: 7E54023C
	v_lshrrev_b32_e32 v240, 4, v0                              // 0000000110C0: 21E00084
	v_mul_i32_i24_e32 v240, 4, v240                            // 0000000110C4: 0DE1E084
	s_mul_i32 s60, s7, 16                                      // 0000000110C8: 923C9007
	v_add_u32_e32 v240, s60, v240                              // 0000000110CC: 69E1E03C
	v_add_u32_e32 v241, 1, v240                                // 0000000110D0: 69E3E081
	v_add_u32_e32 v242, 2, v240                                // 0000000110D4: 69E5E082
	v_add_u32_e32 v243, 3, v240                                // 0000000110D8: 69E7E083
	v_mov_b32_e32 v41, 0xff800000                              // 0000000110DC: 7E5202FF FF800000
	v_cmp_lt_u32_e64 s[40:41], v240, v42                       // 0000000110E4: D0C90028 000255F0
	v_add_u32_e32 v240, 64, v240                               // 0000000110EC: 69E1E0C0
	s_nop 0                                                    // 0000000110F0: BF800000
	v_cndmask_b32_e64 v144, v41, v144, s[40:41]                // 0000000110F4: D1000090 00A32129
	v_cmp_lt_u32_e64 s[40:41], v241, v42                       // 0000000110FC: D0C90028 000255F1
	v_add_u32_e32 v241, 64, v241                               // 000000011104: 69E3E2C0
	s_nop 0                                                    // 000000011108: BF800000
	v_cndmask_b32_e64 v145, v41, v145, s[40:41]                // 00000001110C: D1000091 00A32329
	v_cmp_lt_u32_e64 s[40:41], v242, v42                       // 000000011114: D0C90028 000255F2
	v_add_u32_e32 v242, 64, v242                               // 00000001111C: 69E5E4C0
	s_nop 0                                                    // 000000011120: BF800000
	v_cndmask_b32_e64 v146, v41, v146, s[40:41]                // 000000011124: D1000092 00A32529
	v_cmp_lt_u32_e64 s[40:41], v243, v42                       // 00000001112C: D0C90028 000255F3
	v_add_u32_e32 v243, 64, v243                               // 000000011134: 69E7E6C0
	s_nop 0                                                    // 000000011138: BF800000
	v_cndmask_b32_e64 v147, v41, v147, s[40:41]                // 00000001113C: D1000093 00A32729
	v_cmp_lt_u32_e64 s[40:41], v240, v42                       // 000000011144: D0C90028 000255F0
	v_add_u32_e32 v240, 64, v240                               // 00000001114C: 69E1E0C0
	s_nop 0                                                    // 000000011150: BF800000
	v_cndmask_b32_e64 v148, v41, v148, s[40:41]                // 000000011154: D1000094 00A32929
	v_cmp_lt_u32_e64 s[40:41], v241, v42                       // 00000001115C: D0C90028 000255F1
	v_add_u32_e32 v241, 64, v241                               // 000000011164: 69E3E2C0
	s_nop 0                                                    // 000000011168: BF800000
	v_cndmask_b32_e64 v149, v41, v149, s[40:41]                // 00000001116C: D1000095 00A32B29
	v_cmp_lt_u32_e64 s[40:41], v242, v42                       // 000000011174: D0C90028 000255F2
	v_add_u32_e32 v242, 64, v242                               // 00000001117C: 69E5E4C0
	s_nop 0                                                    // 000000011180: BF800000
	v_cndmask_b32_e64 v150, v41, v150, s[40:41]                // 000000011184: D1000096 00A32D29
	v_cmp_lt_u32_e64 s[40:41], v243, v42                       // 00000001118C: D0C90028 000255F3
	v_add_u32_e32 v243, 64, v243                               // 000000011194: 69E7E6C0
	s_nop 0                                                    // 000000011198: BF800000
	v_cndmask_b32_e64 v151, v41, v151, s[40:41]                // 00000001119C: D1000097 00A32F29
	v_cmp_lt_u32_e64 s[40:41], v240, v42                       // 0000000111A4: D0C90028 000255F0
	v_add_u32_e32 v240, 64, v240                               // 0000000111AC: 69E1E0C0
	s_nop 0                                                    // 0000000111B0: BF800000
	v_cndmask_b32_e64 v152, v41, v152, s[40:41]                // 0000000111B4: D1000098 00A33129
	v_cmp_lt_u32_e64 s[40:41], v241, v42                       // 0000000111BC: D0C90028 000255F1
	v_add_u32_e32 v241, 64, v241                               // 0000000111C4: 69E3E2C0
	s_nop 0                                                    // 0000000111C8: BF800000
	v_cndmask_b32_e64 v153, v41, v153, s[40:41]                // 0000000111CC: D1000099 00A33329
	v_cmp_lt_u32_e64 s[40:41], v242, v42                       // 0000000111D4: D0C90028 000255F2
	v_add_u32_e32 v242, 64, v242                               // 0000000111DC: 69E5E4C0
	s_nop 0                                                    // 0000000111E0: BF800000
	v_cndmask_b32_e64 v154, v41, v154, s[40:41]                // 0000000111E4: D100009A 00A33529
	v_cmp_lt_u32_e64 s[40:41], v243, v42                       // 0000000111EC: D0C90028 000255F3
	v_add_u32_e32 v243, 64, v243                               // 0000000111F4: 69E7E6C0
	s_nop 0                                                    // 0000000111F8: BF800000
	v_cndmask_b32_e64 v155, v41, v155, s[40:41]                // 0000000111FC: D100009B 00A33729
	v_cmp_lt_u32_e64 s[40:41], v240, v42                       // 000000011204: D0C90028 000255F0
	v_add_u32_e32 v240, 64, v240                               // 00000001120C: 69E1E0C0
	s_nop 0                                                    // 000000011210: BF800000
	v_cndmask_b32_e64 v156, v41, v156, s[40:41]                // 000000011214: D100009C 00A33929
	v_cmp_lt_u32_e64 s[40:41], v241, v42                       // 00000001121C: D0C90028 000255F1
	v_add_u32_e32 v241, 64, v241                               // 000000011224: 69E3E2C0
	s_nop 0                                                    // 000000011228: BF800000
	v_cndmask_b32_e64 v157, v41, v157, s[40:41]                // 00000001122C: D100009D 00A33B29
	v_cmp_lt_u32_e64 s[40:41], v242, v42                       // 000000011234: D0C90028 000255F2
	v_add_u32_e32 v242, 64, v242                               // 00000001123C: 69E5E4C0
	s_nop 0                                                    // 000000011240: BF800000
	v_cndmask_b32_e64 v158, v41, v158, s[40:41]                // 000000011244: D100009E 00A33D29
	v_cmp_lt_u32_e64 s[40:41], v243, v42                       // 00000001124C: D0C90028 000255F3
	v_add_u32_e32 v243, 64, v243                               // 000000011254: 69E7E6C0
	s_nop 0                                                    // 000000011258: BF800000
	v_cndmask_b32_e64 v159, v41, v159, s[40:41]                // 00000001125C: D100009F 00A33F29
	v_mov_b32_e32 v62, v144                                    // 000000011264: 7E7C0390
	v_max3_f32 v62, v144, v145, v62                            // 000000011268: D1D3003E 04FB2390
	v_max3_f32 v62, v146, v147, v62                            // 000000011270: D1D3003E 04FB2792
	v_max3_f32 v62, v148, v149, v62                            // 000000011278: D1D3003E 04FB2B94
	v_max3_f32 v62, v150, v151, v62                            // 000000011280: D1D3003E 04FB2F96
	v_max3_f32 v62, v152, v153, v62                            // 000000011288: D1D3003E 04FB3398
	v_max3_f32 v62, v154, v155, v62                            // 000000011290: D1D3003E 04FB379A
	v_max3_f32 v62, v156, v157, v62                            // 000000011298: D1D3003E 04FB3B9C
	v_max3_f32 v62, v158, v159, v62                            // 0000000112A0: D1D3003E 04FB3F9E
	ds_write_b32 v11, v62 offset:16896                         // 0000000112A8: D81A4200 00003E0B
	v_mul_f32_e32 v232, v64, v232                              // 0000000112B0: 0BD1D140
	v_mul_f32_e32 v233, v64, v233                              // 0000000112B4: 0BD3D340
	v_mul_f32_e32 v234, v64, v234                              // 0000000112B8: 0BD5D540
	v_mul_f32_e32 v235, v64, v235                              // 0000000112BC: 0BD7D740
	v_mul_f32_e32 v236, v64, v236                              // 0000000112C0: 0BD9D940
	v_mul_f32_e32 v237, v64, v237                              // 0000000112C4: 0BDBDB40
	v_mul_f32_e32 v238, v64, v238                              // 0000000112C8: 0BDDDD40
	v_mul_f32_e32 v239, v64, v239                              // 0000000112CC: 0BDFDF40
	s_waitcnt lgkmcnt(0)                                       // 0000000112D0: BF8CC07F
	s_barrier                                                  // 0000000112D4: BF8A0000
	ds_read_b32 v80, v10 offset:16896                          // 0000000112D8: D86C4200 5000000A
	ds_read_b32 v81, v10 offset:16960                          // 0000000112E0: D86C4240 5100000A
	ds_read_b32 v82, v10 offset:17024                          // 0000000112E8: D86C4280 5200000A
	ds_read_b32 v83, v10 offset:17088                          // 0000000112F0: D86C42C0 5300000A
	ds_read_b32 v84, v10 offset:17152                          // 0000000112F8: D86C4300 5400000A
	ds_read_b32 v85, v10 offset:17216                          // 000000011300: D86C4340 5500000A
	ds_read_b32 v86, v10 offset:17280                          // 000000011308: D86C4380 5600000A
	ds_read_b32 v87, v10 offset:17344                          // 000000011310: D86C43C0 5700000A
	ds_read_b32 v88, v10 offset:17408                          // 000000011318: D86C4400 5800000A
	ds_read_b32 v89, v10 offset:17472                          // 000000011320: D86C4440 5900000A
	ds_read_b32 v90, v10 offset:17536                          // 000000011328: D86C4480 5A00000A
	ds_read_b32 v91, v10 offset:17600                          // 000000011330: D86C44C0 5B00000A
	ds_read_b32 v92, v10 offset:17664                          // 000000011338: D86C4500 5C00000A
	ds_read_b32 v93, v10 offset:17728                          // 000000011340: D86C4540 5D00000A
	ds_read_b32 v94, v10 offset:17792                          // 000000011348: D86C4580 5E00000A
	ds_read_b32 v95, v10 offset:17856                          // 000000011350: D86C45C0 5F00000A
	v_mul_f32_e32 v200, v59, v200                              // 000000011358: 0B91913B
	v_mul_f32_e32 v201, v59, v201                              // 00000001135C: 0B93933B
	v_mul_f32_e32 v202, v59, v202                              // 000000011360: 0B95953B
	v_mul_f32_e32 v203, v59, v203                              // 000000011364: 0B97973B
	v_mul_f32_e32 v204, v59, v204                              // 000000011368: 0B99993B
	v_mul_f32_e32 v205, v59, v205                              // 00000001136C: 0B9B9B3B
	v_mul_f32_e32 v206, v59, v206                              // 000000011370: 0B9D9D3B
	v_mul_f32_e32 v207, v59, v207                              // 000000011374: 0B9F9F3B
	s_waitcnt lgkmcnt(0)                                       // 000000011378: BF8CC07F
	v_max3_f32 v62, v80, v81, v62                              // 00000001137C: D1D3003E 04FAA350
	v_max3_f32 v62, v82, v83, v62                              // 000000011384: D1D3003E 04FAA752
	v_max3_f32 v62, v84, v85, v62                              // 00000001138C: D1D3003E 04FAAB54
	v_max3_f32 v62, v86, v87, v62                              // 000000011394: D1D3003E 04FAAF56
	v_max3_f32 v62, v88, v89, v62                              // 00000001139C: D1D3003E 04FAB358
	v_max3_f32 v62, v90, v91, v62                              // 0000000113A4: D1D3003E 04FAB75A
	v_max3_f32 v62, v92, v93, v62                              // 0000000113AC: D1D3003E 04FABB5C
	v_max3_f32 v62, v94, v95, v62                              // 0000000113B4: D1D3003E 04FABF5E
	v_mov_b32_e32 v41, 0xff800000                              // 0000000113BC: 7E5202FF FF800000
	v_cmp_eq_u32_e64 s[40:41], v41, v15                        // 0000000113C4: D0CA0028 00021F29
	s_nop 1                                                    // 0000000113CC: BF800001
	v_max_f32_e32 v18, v62, v15                                // 0000000113D0: 16241F3E
	v_mul_f32_e32 v67, s64, v18                                // 0000000113D4: 0A862440
	v_fma_f32 v144, v144, s64, -v67                            // 0000000113D8: D1CB0090 850C8190
	v_fma_f32 v145, v145, s64, -v67                            // 0000000113E0: D1CB0091 850C8191
	v_fma_f32 v146, v146, s64, -v67                            // 0000000113E8: D1CB0092 850C8192
	v_fma_f32 v147, v147, s64, -v67                            // 0000000113F0: D1CB0093 850C8193
	v_fma_f32 v148, v148, s64, -v67                            // 0000000113F8: D1CB0094 850C8194
	v_fma_f32 v149, v149, s64, -v67                            // 000000011400: D1CB0095 850C8195
	v_fma_f32 v150, v150, s64, -v67                            // 000000011408: D1CB0096 850C8196
	v_fma_f32 v151, v151, s64, -v67                            // 000000011410: D1CB0097 850C8197
	v_fma_f32 v152, v152, s64, -v67                            // 000000011418: D1CB0098 850C8198
	v_fma_f32 v153, v153, s64, -v67                            // 000000011420: D1CB0099 850C8199
	v_fma_f32 v154, v154, s64, -v67                            // 000000011428: D1CB009A 850C819A
	v_fma_f32 v155, v155, s64, -v67                            // 000000011430: D1CB009B 850C819B
	v_fma_f32 v156, v156, s64, -v67                            // 000000011438: D1CB009C 850C819C
	v_fma_f32 v157, v157, s64, -v67                            // 000000011440: D1CB009D 850C819D
	v_fma_f32 v158, v158, s64, -v67                            // 000000011448: D1CB009E 850C819E
	v_fma_f32 v159, v159, s64, -v67                            // 000000011450: D1CB009F 850C819F
	v_exp_f32_e32 v144, v144                                   // 000000011458: 7F204190
	v_exp_f32_e32 v145, v145                                   // 00000001145C: 7F224191
	v_exp_f32_e32 v146, v146                                   // 000000011460: 7F244192
	v_exp_f32_e32 v147, v147                                   // 000000011464: 7F264193
	v_exp_f32_e32 v148, v148                                   // 000000011468: 7F284194
	v_exp_f32_e32 v149, v149                                   // 00000001146C: 7F2A4195
	v_exp_f32_e32 v150, v150                                   // 000000011470: 7F2C4196
	v_exp_f32_e32 v151, v151                                   // 000000011474: 7F2E4197
	v_exp_f32_e32 v152, v152                                   // 000000011478: 7F304198
	v_exp_f32_e32 v153, v153                                   // 00000001147C: 7F324199
	v_exp_f32_e32 v154, v154                                   // 000000011480: 7F34419A
	v_exp_f32_e32 v155, v155                                   // 000000011484: 7F36419B
	v_exp_f32_e32 v156, v156                                   // 000000011488: 7F38419C
	v_exp_f32_e32 v157, v157                                   // 00000001148C: 7F3A419D
	v_exp_f32_e32 v158, v158                                   // 000000011490: 7F3C419E
	v_exp_f32_e32 v159, v159                                   // 000000011494: 7F3E419F
	v_mul_f32_dpp v240, v252, v144 quad_perm:[0,0,0,0] row_mask:0xf bank_mask:0xf// 000000011498: 0BE120FA FF0000FC
	v_mul_f32_dpp v241, v252, v145 quad_perm:[1,1,1,1] row_mask:0xf bank_mask:0xf// 0000000114A0: 0BE322FA FF0055FC
	v_mul_f32_dpp v242, v252, v146 quad_perm:[2,2,2,2] row_mask:0xf bank_mask:0xf// 0000000114A8: 0BE524FA FF00AAFC
	v_mul_f32_dpp v243, v252, v147 quad_perm:[3,3,3,3] row_mask:0xf bank_mask:0xf// 0000000114B0: 0BE726FA FF00FFFC
	v_mul_f32_dpp v244, v253, v148 quad_perm:[0,0,0,0] row_mask:0xf bank_mask:0xf// 0000000114B8: 0BE928FA FF0000FD
	v_mul_f32_dpp v245, v253, v149 quad_perm:[1,1,1,1] row_mask:0xf bank_mask:0xf// 0000000114C0: 0BEB2AFA FF0055FD
	v_mul_f32_dpp v246, v253, v150 quad_perm:[2,2,2,2] row_mask:0xf bank_mask:0xf// 0000000114C8: 0BED2CFA FF00AAFD
	v_mul_f32_dpp v247, v253, v151 quad_perm:[3,3,3,3] row_mask:0xf bank_mask:0xf// 0000000114D0: 0BEF2EFA FF00FFFD
	v_mul_f32_dpp v248, v254, v152 quad_perm:[0,0,0,0] row_mask:0xf bank_mask:0xf// 0000000114D8: 0BF130FA FF0000FE
	v_mul_f32_dpp v249, v254, v153 quad_perm:[1,1,1,1] row_mask:0xf bank_mask:0xf// 0000000114E0: 0BF332FA FF0055FE
	v_mul_f32_dpp v250, v254, v154 quad_perm:[2,2,2,2] row_mask:0xf bank_mask:0xf// 0000000114E8: 0BF534FA FF00AAFE
	v_mul_f32_dpp v251, v254, v155 quad_perm:[3,3,3,3] row_mask:0xf bank_mask:0xf// 0000000114F0: 0BF736FA FF00FFFE
	v_mul_f32_dpp v252, v255, v156 quad_perm:[0,0,0,0] row_mask:0xf bank_mask:0xf// 0000000114F8: 0BF938FA FF0000FF
	v_mul_f32_dpp v253, v255, v157 quad_perm:[1,1,1,1] row_mask:0xf bank_mask:0xf// 000000011500: 0BFB3AFA FF0055FF
	v_mul_f32_dpp v254, v255, v158 quad_perm:[2,2,2,2] row_mask:0xf bank_mask:0xf// 000000011508: 0BFD3CFA FF00AAFF
	v_mul_f32_dpp v255, v255, v159 quad_perm:[3,3,3,3] row_mask:0xf bank_mask:0xf// 000000011510: 0BFF3EFA FF00FFFF
	v_mov_b32_e32 v62, 0x358637bd                              // 000000011518: 7E7C02FF 358637BD
	v_max3_f32 v62, |v240|, |v241|, v62                        // 000000011520: D1D3033E 04FBE3F0
	v_max3_f32 v62, |v242|, |v243|, v62                        // 000000011528: D1D3033E 04FBE7F2
	v_max3_f32 v62, |v244|, |v245|, v62                        // 000000011530: D1D3033E 04FBEBF4
	v_max3_f32 v62, |v246|, |v247|, v62                        // 000000011538: D1D3033E 04FBEFF6
	v_max3_f32 v62, |v248|, |v249|, v62                        // 000000011540: D1D3033E 04FBF3F8
	v_max3_f32 v62, |v250|, |v251|, v62                        // 000000011548: D1D3033E 04FBF7FA
	v_max3_f32 v62, |v252|, |v253|, v62                        // 000000011550: D1D3033E 04FBFBFC
	v_max3_f32 v62, |v254|, |v255|, v62                        // 000000011558: D1D3033E 04FBFFFE
	ds_write_b32 v11, v62 offset:20992                         // 000000011560: D81A5200 00003E0B
	v_sub_f32_e32 v64, v15, v18                                // 000000011568: 0480250F
	v_cndmask_b32_e64 v64, v64, 0, s[40:41]                    // 00000001156C: D1000040 00A10140
	v_mov_b32_e32 v15, v18                                     // 000000011574: 7E1E0312
	v_mul_f32_e32 v64, s64, v64                                // 000000011578: 0A808040
	v_exp_f32_e32 v64, v64                                     // 00000001157C: 7E804140
	s_waitcnt lgkmcnt(0)                                       // 000000011580: BF8CC07F
	s_barrier                                                  // 000000011584: BF8A0000
	ds_read_b32 v80, v10 offset:20992                          // 000000011588: D86C5200 5000000A
	ds_read_b32 v81, v10 offset:21056                          // 000000011590: D86C5240 5100000A
	ds_read_b32 v82, v10 offset:21120                          // 000000011598: D86C5280 5200000A
	ds_read_b32 v83, v10 offset:21184                          // 0000000115A0: D86C52C0 5300000A
	ds_read_b32 v84, v10 offset:21248                          // 0000000115A8: D86C5300 5400000A
	ds_read_b32 v85, v10 offset:21312                          // 0000000115B0: D86C5340 5500000A
	ds_read_b32 v86, v10 offset:21376                          // 0000000115B8: D86C5380 5600000A
	ds_read_b32 v87, v10 offset:21440                          // 0000000115C0: D86C53C0 5700000A
	ds_read_b32 v88, v10 offset:21504                          // 0000000115C8: D86C5400 5800000A
	ds_read_b32 v89, v10 offset:21568                          // 0000000115D0: D86C5440 5900000A
	ds_read_b32 v90, v10 offset:21632                          // 0000000115D8: D86C5480 5A00000A
	ds_read_b32 v91, v10 offset:21696                          // 0000000115E0: D86C54C0 5B00000A
	ds_read_b32 v92, v10 offset:21760                          // 0000000115E8: D86C5500 5C00000A
	ds_read_b32 v93, v10 offset:21824                          // 0000000115F0: D86C5540 5D00000A
	ds_read_b32 v94, v10 offset:21888                          // 0000000115F8: D86C5580 5E00000A
	ds_read_b32 v95, v10 offset:21952                          // 000000011600: D86C55C0 5F00000A
	v_mul_f32_e32 v48, v64, v48                                // 000000011608: 0A606140
	v_mov_b32_e32 v18, v144                                    // 00000001160C: 7E240390
	v_add_f32_e32 v18, v145, v18                               // 000000011610: 02242591
	v_add_f32_e32 v18, v146, v18                               // 000000011614: 02242592
	;; [unrolled: 1-line block ×3, first 2 shown]
	v_add_f32_e32 v18, v148, v18                               // 00000001161C: 02242594
	v_add_f32_e32 v18, v149, v18                               // 000000011620: 02242595
	v_add_f32_e32 v18, v150, v18                               // 000000011624: 02242596
	;; [unrolled: 1-line block ×3, first 2 shown]
	v_add_f32_e32 v18, v152, v18                               // 00000001162C: 02242598
	v_add_f32_e32 v18, v153, v18                               // 000000011630: 02242599
	v_add_f32_e32 v18, v154, v18                               // 000000011634: 0224259A
	v_add_f32_e32 v18, v155, v18                               // 000000011638: 0224259B
	v_add_f32_e32 v18, v156, v18                               // 00000001163C: 0224259C
	v_add_f32_e32 v18, v157, v18                               // 000000011640: 0224259D
	v_add_f32_e32 v18, v158, v18                               // 000000011644: 0224259E
	v_add_f32_e32 v18, v159, v18                               // 000000011648: 0224259F
	v_add_f32_e32 v48, v18, v48                                // 00000001164C: 02606112
	s_waitcnt lgkmcnt(0)                                       // 000000011650: BF8CC07F
	v_max3_f32 v62, |v80|, |v81|, v62                          // 000000011654: D1D3033E 04FAA350
	v_max3_f32 v62, |v82|, |v83|, v62                          // 00000001165C: D1D3033E 04FAA752
	v_max3_f32 v62, |v84|, |v85|, v62                          // 000000011664: D1D3033E 04FAAB54
	v_max3_f32 v62, |v86|, |v87|, v62                          // 00000001166C: D1D3033E 04FAAF56
	v_max3_f32 v62, |v88|, |v89|, v62                          // 000000011674: D1D3033E 04FAB358
	v_max3_f32 v62, |v90|, |v91|, v62                          // 00000001167C: D1D3033E 04FAB75A
	v_max3_f32 v62, |v92|, |v93|, v62                          // 000000011684: D1D3033E 04FABB5C
	v_max3_f32 v62, |v94|, |v95|, v62                          // 00000001168C: D1D3033E 04FABF5E
	s_nop 2                                                    // 000000011694: BF800002
	v_rcp_f32_e32 v62, v62                                     // 000000011698: 7E7C453E
	s_nop 1                                                    // 00000001169C: BF800001
	v_mul_f32_e32 v62, 0x43e00000, v62                         // 0000000116A0: 0A7C7CFF 43E00000
	v_mul_f32_e32 v144, v62, v240                              // 0000000116A8: 0B21E13E
	v_mul_f32_e32 v145, v62, v241                              // 0000000116AC: 0B23E33E
	v_mul_f32_e32 v146, v62, v242                              // 0000000116B0: 0B25E53E
	v_mul_f32_e32 v147, v62, v243                              // 0000000116B4: 0B27E73E
	v_mul_f32_e32 v148, v62, v244                              // 0000000116B8: 0B29E93E
	v_mul_f32_e32 v149, v62, v245                              // 0000000116BC: 0B2BEB3E
	v_mul_f32_e32 v150, v62, v246                              // 0000000116C0: 0B2DED3E
	v_mul_f32_e32 v151, v62, v247                              // 0000000116C4: 0B2FEF3E
	v_mul_f32_e32 v152, v62, v248                              // 0000000116C8: 0B31F13E
	v_mul_f32_e32 v153, v62, v249                              // 0000000116CC: 0B33F33E
	v_mul_f32_e32 v154, v62, v250                              // 0000000116D0: 0B35F53E
	v_mul_f32_e32 v155, v62, v251                              // 0000000116D4: 0B37F73E
	v_mul_f32_e32 v156, v62, v252                              // 0000000116D8: 0B39F93E
	v_mul_f32_e32 v157, v62, v253                              // 0000000116DC: 0B3BFB3E
	v_mul_f32_e32 v158, v62, v254                              // 0000000116E0: 0B3DFD3E
	v_mul_f32_e32 v159, v62, v255                              // 0000000116E4: 0B3FFF3E
	v_cvt_pk_fp8_f32 v144, v144, v145                          // 0000000116E8: D2A20090 00032390
	v_cvt_pk_fp8_f32 v144, v146, v147 op_sel:[0,0,1]           // 0000000116F0: D2A24090 00032792
	v_cvt_pk_fp8_f32 v145, v148, v149                          // 0000000116F8: D2A20091 00032B94
	v_cvt_pk_fp8_f32 v145, v150, v151 op_sel:[0,0,1]           // 000000011700: D2A24091 00032F96
	v_cvt_pk_fp8_f32 v146, v152, v153                          // 000000011708: D2A20092 00033398
	v_cvt_pk_fp8_f32 v146, v154, v155 op_sel:[0,0,1]           // 000000011710: D2A24092 0003379A
	v_cvt_pk_fp8_f32 v147, v156, v157                          // 000000011718: D2A20093 00033B9C
	v_cvt_pk_fp8_f32 v147, v158, v159 op_sel:[0,0,1]           // 000000011720: D2A24093 00033F9E
	ds_write_b32 v13, v144 offset:29184                        // 000000011728: D81A7200 0000900D
	ds_write_b32 v13, v145 offset:30208                        // 000000011730: D81A7600 0000910D
	ds_write_b32 v13, v146 offset:31232                        // 000000011738: D81A7A00 0000920D
	ds_write_b32 v13, v147 offset:32256                        // 000000011740: D81A7E00 0000930D
	v_add_f32_e32 v232, v232, v200                             // 000000011748: 03D191E8
	v_add_f32_e32 v233, v233, v201                             // 00000001174C: 03D393E9
	v_add_f32_e32 v234, v234, v202                             // 000000011750: 03D595EA
	v_add_f32_e32 v235, v235, v203                             // 000000011754: 03D797EB
	v_add_f32_e32 v236, v236, v204                             // 000000011758: 03D999EC
	v_add_f32_e32 v237, v237, v205                             // 00000001175C: 03DB9BED
	v_add_f32_e32 v238, v238, v206                             // 000000011760: 03DD9DEE
	v_add_f32_e32 v239, v239, v207                             // 000000011764: 03DF9FEF
	v_rcp_f32_e32 v59, v62                                     // 000000011768: 7E76453E
	s_waitcnt lgkmcnt(0)                                       // 00000001176C: BF8CC07F
	s_barrier                                                  // 000000011770: BF8A0000
	ds_read_b64 v[144:145], v12 offset:29184                   // 000000011774: D8EC7200 9000000C
	ds_read_b64 v[146:147], v12 offset:29312                   // 00000001177C: D8EC7280 9200000C
	ds_read_b64 v[148:149], v12 offset:30208                   // 000000011784: D8EC7600 9400000C
	ds_read_b64 v[150:151], v12 offset:30336                   // 00000001178C: D8EC7680 9600000C
	ds_read_b64 v[152:153], v12 offset:31232                   // 000000011794: D8EC7A00 9800000C
	ds_read_b64 v[154:155], v12 offset:31360                   // 00000001179C: D8EC7A80 9A00000C
	ds_read_b64 v[156:157], v12 offset:32256                   // 0000000117A4: D8EC7E00 9C00000C
	ds_read_b64 v[158:159], v12 offset:32384                   // 0000000117AC: D8EC7E80 9E00000C
	s_waitcnt vmcnt(0)                                         // 0000000117B4: BF8C0F70
	s_barrier                                                  // 0000000117B8: BF8A0000
	v_mfma_f32_16x16x32_fp8_fp8 v[192:195], a[64:65], v[128:129], 0// 0000000117BC: D3F300C0 0A030140
	v_mfma_f32_16x16x32_fp8_fp8 v[192:195], a[66:67], v[130:131], v[192:195]// 0000000117C4: D3F300C0 0F030542
	v_mfma_f32_16x16x32_fp8_fp8 v[192:195], a[68:69], v[132:133], v[192:195]// 0000000117CC: D3F300C0 0F030944
	v_mfma_f32_16x16x32_fp8_fp8 v[192:195], a[70:71], v[134:135], v[192:195]// 0000000117D4: D3F300C0 0F030D46
	v_mfma_f32_16x16x32_fp8_fp8 v[192:195], a[72:73], v[136:137], v[192:195]// 0000000117DC: D3F300C0 0F031148
	v_mfma_f32_16x16x32_fp8_fp8 v[192:195], a[74:75], v[138:139], v[192:195]// 0000000117E4: D3F300C0 0F03154A
	v_mfma_f32_16x16x32_fp8_fp8 v[192:195], a[76:77], v[140:141], v[192:195]// 0000000117EC: D3F300C0 0F03194C
	v_mfma_f32_16x16x32_fp8_fp8 v[192:195], a[78:79], v[142:143], v[192:195]// 0000000117F4: D3F300C0 0F031D4E
	v_mfma_f32_16x16x32_fp8_fp8 v[196:199], a[80:81], v[128:129], 0// 0000000117FC: D3F300C4 0A030150
	v_mfma_f32_16x16x32_fp8_fp8 v[196:199], a[82:83], v[130:131], v[196:199]// 000000011804: D3F300C4 0F130552
	v_mfma_f32_16x16x32_fp8_fp8 v[196:199], a[84:85], v[132:133], v[196:199]// 00000001180C: D3F300C4 0F130954
	v_mfma_f32_16x16x32_fp8_fp8 v[196:199], a[86:87], v[134:135], v[196:199]// 000000011814: D3F300C4 0F130D56
	v_mfma_f32_16x16x32_fp8_fp8 v[196:199], a[88:89], v[136:137], v[196:199]// 00000001181C: D3F300C4 0F131158
	v_mfma_f32_16x16x32_fp8_fp8 v[196:199], a[90:91], v[138:139], v[196:199]// 000000011824: D3F300C4 0F13155A
	v_mfma_f32_16x16x32_fp8_fp8 v[196:199], a[92:93], v[140:141], v[196:199]// 00000001182C: D3F300C4 0F13195C
	v_mfma_f32_16x16x32_fp8_fp8 v[196:199], a[94:95], v[142:143], v[196:199]// 000000011834: D3F300C4 0F131D5E
	v_mfma_f32_16x16x32_fp8_fp8 v[200:203], a[64:65], v[144:145], 0// 00000001183C: D3F300C8 0A032140
	v_mfma_f32_16x16x32_fp8_fp8 v[200:203], a[66:67], v[146:147], v[200:203]// 000000011844: D3F300C8 0F232542
	v_mfma_f32_16x16x32_fp8_fp8 v[200:203], a[68:69], v[148:149], v[200:203]// 00000001184C: D3F300C8 0F232944
	v_mfma_f32_16x16x32_fp8_fp8 v[200:203], a[70:71], v[150:151], v[200:203]// 000000011854: D3F300C8 0F232D46
	v_mfma_f32_16x16x32_fp8_fp8 v[200:203], a[72:73], v[152:153], v[200:203]// 00000001185C: D3F300C8 0F233148
	v_mfma_f32_16x16x32_fp8_fp8 v[200:203], a[74:75], v[154:155], v[200:203]// 000000011864: D3F300C8 0F23354A
	v_mfma_f32_16x16x32_fp8_fp8 v[200:203], a[76:77], v[156:157], v[200:203]// 00000001186C: D3F300C8 0F23394C
	v_mfma_f32_16x16x32_fp8_fp8 v[200:203], a[78:79], v[158:159], v[200:203]// 000000011874: D3F300C8 0F233D4E
	v_mfma_f32_16x16x32_fp8_fp8 v[204:207], a[80:81], v[144:145], 0// 00000001187C: D3F300CC 0A032150
	v_mfma_f32_16x16x32_fp8_fp8 v[204:207], a[82:83], v[146:147], v[204:207]// 000000011884: D3F300CC 0F332552
	v_mfma_f32_16x16x32_fp8_fp8 v[204:207], a[84:85], v[148:149], v[204:207]// 00000001188C: D3F300CC 0F332954
	v_mfma_f32_16x16x32_fp8_fp8 v[204:207], a[86:87], v[150:151], v[204:207]// 000000011894: D3F300CC 0F332D56
	v_mfma_f32_16x16x32_fp8_fp8 v[204:207], a[88:89], v[152:153], v[204:207]// 00000001189C: D3F300CC 0F333158
	v_mfma_f32_16x16x32_fp8_fp8 v[204:207], a[90:91], v[154:155], v[204:207]// 0000000118A4: D3F300CC 0F33355A
	v_mfma_f32_16x16x32_fp8_fp8 v[204:207], a[92:93], v[156:157], v[204:207]// 0000000118AC: D3F300CC 0F33395C
	v_mfma_f32_16x16x32_fp8_fp8 v[204:207], a[94:95], v[158:159], v[204:207]// 0000000118B4: D3F300CC 0F333D5E
	s_nop 4                                                    // 0000000118BC: BF800004
	s_branch label_4376                                        // 0000000118C0: BF8205C5

00000000000118c4 <label_3DB1>:
	s_waitcnt vmcnt(8) lgkmcnt(0)                              // 0000000118C4: BF8C0078
	s_barrier                                                  // 0000000118C8: BF8A0000
	v_mfma_f32_16x16x32_fp8_fp8 v[128:131], a[32:33], v[96:97], 0// 0000000118CC: D3F30080 0A02C120
	v_mfma_f32_16x16x32_fp8_fp8 v[128:131], a[34:35], v[98:99], v[128:131]// 0000000118D4: D3F30080 0E02C522
	v_mfma_f32_16x16x32_fp8_fp8 v[128:131], a[36:37], v[100:101], v[128:131]// 0000000118DC: D3F30080 0E02C924
	v_mfma_f32_16x16x32_fp8_fp8 v[128:131], a[38:39], v[102:103], v[128:131]// 0000000118E4: D3F30080 0E02CD26
	v_mfma_f32_16x16x32_fp8_fp8 v[132:135], a[40:41], v[96:97], 0// 0000000118EC: D3F30084 0A02C128
	v_mfma_f32_16x16x32_fp8_fp8 v[132:135], a[42:43], v[98:99], v[132:135]// 0000000118F4: D3F30084 0E12C52A
	v_mfma_f32_16x16x32_fp8_fp8 v[132:135], a[44:45], v[100:101], v[132:135]// 0000000118FC: D3F30084 0E12C92C
	v_mfma_f32_16x16x32_fp8_fp8 v[132:135], a[46:47], v[102:103], v[132:135]// 000000011904: D3F30084 0E12CD2E
	v_mfma_f32_16x16x32_fp8_fp8 v[136:139], a[48:49], v[96:97], 0// 00000001190C: D3F30088 0A02C130
	v_mfma_f32_16x16x32_fp8_fp8 v[136:139], a[50:51], v[98:99], v[136:139]// 000000011914: D3F30088 0E22C532
	v_mfma_f32_16x16x32_fp8_fp8 v[136:139], a[52:53], v[100:101], v[136:139]// 00000001191C: D3F30088 0E22C934
	v_mfma_f32_16x16x32_fp8_fp8 v[136:139], a[54:55], v[102:103], v[136:139]// 000000011924: D3F30088 0E22CD36
	v_mfma_f32_16x16x32_fp8_fp8 v[140:143], a[56:57], v[96:97], 0// 00000001192C: D3F3008C 0A02C138
	v_mfma_f32_16x16x32_fp8_fp8 v[140:143], a[58:59], v[98:99], v[140:143]// 000000011934: D3F3008C 0E32C53A
	v_mfma_f32_16x16x32_fp8_fp8 v[140:143], a[60:61], v[100:101], v[140:143]// 00000001193C: D3F3008C 0E32C93C
	v_mfma_f32_16x16x32_fp8_fp8 v[140:143], a[62:63], v[102:103], v[140:143]// 000000011944: D3F3008C 0E32CD3E
	v_mfma_f32_16x16x32_fp8_fp8 v[144:147], a[32:33], v[104:105], 0// 00000001194C: D3F30090 0A02D120
	v_mfma_f32_16x16x32_fp8_fp8 v[144:147], a[34:35], v[106:107], v[144:147]// 000000011954: D3F30090 0E42D522
	v_mfma_f32_16x16x32_fp8_fp8 v[144:147], a[36:37], v[108:109], v[144:147]// 00000001195C: D3F30090 0E42D924
	v_mfma_f32_16x16x32_fp8_fp8 v[144:147], a[38:39], v[110:111], v[144:147]// 000000011964: D3F30090 0E42DD26
	v_mfma_f32_16x16x32_fp8_fp8 v[148:151], a[40:41], v[104:105], 0// 00000001196C: D3F30094 0A02D128
	v_mfma_f32_16x16x32_fp8_fp8 v[148:151], a[42:43], v[106:107], v[148:151]// 000000011974: D3F30094 0E52D52A
	v_mfma_f32_16x16x32_fp8_fp8 v[148:151], a[44:45], v[108:109], v[148:151]// 00000001197C: D3F30094 0E52D92C
	v_mfma_f32_16x16x32_fp8_fp8 v[148:151], a[46:47], v[110:111], v[148:151]// 000000011984: D3F30094 0E52DD2E
	v_mfma_f32_16x16x32_fp8_fp8 v[152:155], a[48:49], v[104:105], 0// 00000001198C: D3F30098 0A02D130
	v_mfma_f32_16x16x32_fp8_fp8 v[152:155], a[50:51], v[106:107], v[152:155]// 000000011994: D3F30098 0E62D532
	v_mfma_f32_16x16x32_fp8_fp8 v[152:155], a[52:53], v[108:109], v[152:155]// 00000001199C: D3F30098 0E62D934
	v_mfma_f32_16x16x32_fp8_fp8 v[152:155], a[54:55], v[110:111], v[152:155]// 0000000119A4: D3F30098 0E62DD36
	v_mfma_f32_16x16x32_fp8_fp8 v[156:159], a[56:57], v[104:105], 0// 0000000119AC: D3F3009C 0A02D138
	v_mfma_f32_16x16x32_fp8_fp8 v[156:159], a[58:59], v[106:107], v[156:159]// 0000000119B4: D3F3009C 0E72D53A
	v_mfma_f32_16x16x32_fp8_fp8 v[156:159], a[60:61], v[108:109], v[156:159]// 0000000119BC: D3F3009C 0E72D93C
	v_mfma_f32_16x16x32_fp8_fp8 v[156:159], a[62:63], v[110:111], v[156:159]// 0000000119C4: D3F3009C 0E72DD3E
	v_mov_b32_dpp v41, v53 row_shr:4 row_mask:0xf bank_mask:0xf// 0000000119CC: 7E5202FA FF011435
	v_mov_b32_dpp v42, v53 row_shl:4 row_mask:0xf bank_mask:0xf// 0000000119D4: 7E5402FA FF010435
	v_cndmask_b32_e64 v248, v53, v41, s[44:45]                 // 0000000119DC: D10000F8 00B25335
	v_cndmask_b32_e64 v249, v42, v53, s[44:45]                 // 0000000119E4: D10000F9 00B26B2A
	v_mov_b32_dpp v41, v248 row_shr:8 row_mask:0xf bank_mask:0xf// 0000000119EC: 7E5202FA FF0118F8
	v_mov_b32_dpp v42, v248 row_shl:8 row_mask:0xf bank_mask:0xf// 0000000119F4: 7E5402FA FF0108F8
	v_mov_b32_dpp v43, v249 row_shr:8 row_mask:0xf bank_mask:0xf// 0000000119FC: 7E5602FA FF0118F9
	v_mov_b32_dpp v44, v249 row_shl:8 row_mask:0xf bank_mask:0xf// 000000011A04: 7E5802FA FF0108F9
	v_mov_b32_e32 v45, v248                                    // 000000011A0C: 7E5A03F8
	v_mov_b32_e32 v46, v249                                    // 000000011A10: 7E5C03F9
	v_cndmask_b32_e64 v248, v45, v41, s[42:43]                 // 000000011A14: D10000F8 00AA532D
	v_cndmask_b32_e64 v250, v45, v42, s[78:79]                 // 000000011A1C: D10000FA 013A552D
	v_cndmask_b32_e64 v249, v46, v43, s[42:43]                 // 000000011A24: D10000F9 00AA572E
	v_cndmask_b32_e64 v251, v46, v44, s[78:79]                 // 000000011A2C: D10000FB 013A592E
	v_mov_b32_dpp v41, v73 row_shr:4 row_mask:0xf bank_mask:0xf// 000000011A34: 7E5202FA FF011449
	v_mov_b32_dpp v42, v73 row_shl:4 row_mask:0xf bank_mask:0xf// 000000011A3C: 7E5402FA FF010449
	v_cndmask_b32_e64 v252, v73, v41, s[44:45]                 // 000000011A44: D10000FC 00B25349
	v_cndmask_b32_e64 v253, v42, v73, s[44:45]                 // 000000011A4C: D10000FD 00B2932A
	v_mov_b32_dpp v41, v252 row_shr:8 row_mask:0xf bank_mask:0xf// 000000011A54: 7E5202FA FF0118FC
	v_mov_b32_dpp v42, v252 row_shl:8 row_mask:0xf bank_mask:0xf// 000000011A5C: 7E5402FA FF0108FC
	v_mov_b32_dpp v43, v253 row_shr:8 row_mask:0xf bank_mask:0xf// 000000011A64: 7E5602FA FF0118FD
	v_mov_b32_dpp v44, v253 row_shl:8 row_mask:0xf bank_mask:0xf// 000000011A6C: 7E5802FA FF0108FD
	v_mov_b32_e32 v45, v252                                    // 000000011A74: 7E5A03FC
	v_mov_b32_e32 v46, v253                                    // 000000011A78: 7E5C03FD
	v_cndmask_b32_e64 v252, v45, v41, s[42:43]                 // 000000011A7C: D10000FC 00AA532D
	v_cndmask_b32_e64 v254, v45, v42, s[78:79]                 // 000000011A84: D10000FE 013A552D
	v_cndmask_b32_e64 v253, v46, v43, s[42:43]                 // 000000011A8C: D10000FD 00AA572E
	v_cndmask_b32_e64 v255, v46, v44, s[78:79]                 // 000000011A94: D10000FF 013A592E
	v_mul_f32_e32 v128, v54, v128                              // 000000011A9C: 0B010136
	v_mul_f32_e32 v129, v54, v129                              // 000000011AA0: 0B030336
	v_mul_f32_e32 v130, v54, v130                              // 000000011AA4: 0B050536
	v_mul_f32_e32 v131, v54, v131                              // 000000011AA8: 0B070736
	v_mul_f32_e32 v132, v54, v132                              // 000000011AAC: 0B090936
	v_mul_f32_e32 v133, v54, v133                              // 000000011AB0: 0B0B0B36
	v_mul_f32_e32 v134, v54, v134                              // 000000011AB4: 0B0D0D36
	v_mul_f32_e32 v135, v54, v135                              // 000000011AB8: 0B0F0F36
	v_mul_f32_e32 v136, v54, v136                              // 000000011ABC: 0B111136
	v_mul_f32_e32 v137, v54, v137                              // 000000011AC0: 0B131336
	v_mul_f32_e32 v138, v54, v138                              // 000000011AC4: 0B151536
	v_mul_f32_e32 v139, v54, v139                              // 000000011AC8: 0B171736
	v_mul_f32_e32 v140, v54, v140                              // 000000011ACC: 0B191936
	v_mul_f32_e32 v141, v54, v141                              // 000000011AD0: 0B1B1B36
	v_mul_f32_e32 v142, v54, v142                              // 000000011AD4: 0B1D1D36
	v_mul_f32_e32 v143, v54, v143                              // 000000011AD8: 0B1F1F36
	v_mul_f32_dpp v128, v248, v128 quad_perm:[0,0,0,0] row_mask:0xf bank_mask:0xf// 000000011ADC: 0B0100FA FF0000F8
	v_mul_f32_dpp v129, v248, v129 quad_perm:[1,1,1,1] row_mask:0xf bank_mask:0xf// 000000011AE4: 0B0302FA FF0055F8
	v_mul_f32_dpp v130, v248, v130 quad_perm:[2,2,2,2] row_mask:0xf bank_mask:0xf// 000000011AEC: 0B0504FA FF00AAF8
	v_mul_f32_dpp v131, v248, v131 quad_perm:[3,3,3,3] row_mask:0xf bank_mask:0xf// 000000011AF4: 0B0706FA FF00FFF8
	v_mul_f32_dpp v132, v249, v132 quad_perm:[0,0,0,0] row_mask:0xf bank_mask:0xf// 000000011AFC: 0B0908FA FF0000F9
	v_mul_f32_dpp v133, v249, v133 quad_perm:[1,1,1,1] row_mask:0xf bank_mask:0xf// 000000011B04: 0B0B0AFA FF0055F9
	v_mul_f32_dpp v134, v249, v134 quad_perm:[2,2,2,2] row_mask:0xf bank_mask:0xf// 000000011B0C: 0B0D0CFA FF00AAF9
	v_mul_f32_dpp v135, v249, v135 quad_perm:[3,3,3,3] row_mask:0xf bank_mask:0xf// 000000011B14: 0B0F0EFA FF00FFF9
	v_mul_f32_dpp v136, v250, v136 quad_perm:[0,0,0,0] row_mask:0xf bank_mask:0xf// 000000011B1C: 0B1110FA FF0000FA
	v_mul_f32_dpp v137, v250, v137 quad_perm:[1,1,1,1] row_mask:0xf bank_mask:0xf// 000000011B24: 0B1312FA FF0055FA
	v_mul_f32_dpp v138, v250, v138 quad_perm:[2,2,2,2] row_mask:0xf bank_mask:0xf// 000000011B2C: 0B1514FA FF00AAFA
	v_mul_f32_dpp v139, v250, v139 quad_perm:[3,3,3,3] row_mask:0xf bank_mask:0xf// 000000011B34: 0B1716FA FF00FFFA
	v_mul_f32_dpp v140, v251, v140 quad_perm:[0,0,0,0] row_mask:0xf bank_mask:0xf// 000000011B3C: 0B1918FA FF0000FB
	v_mul_f32_dpp v141, v251, v141 quad_perm:[1,1,1,1] row_mask:0xf bank_mask:0xf// 000000011B44: 0B1B1AFA FF0055FB
	v_mul_f32_dpp v142, v251, v142 quad_perm:[2,2,2,2] row_mask:0xf bank_mask:0xf// 000000011B4C: 0B1D1CFA FF00AAFB
	v_mul_f32_dpp v143, v251, v143 quad_perm:[3,3,3,3] row_mask:0xf bank_mask:0xf// 000000011B54: 0B1F1EFA FF00FFFB
	s_cmp_le_i32 s90, s89                                      // 000000011B5C: BF05595A
	s_cbranch_scc1 label_3ECC                                  // 000000011B60: BF850073
	v_mov_b32_e32 v69, 0xff800000                              // 000000011B64: 7E8A02FF FF800000
	s_mov_b32 s60, s90                                         // 000000011B6C: BEBC005A
	s_add_u32 s61, s89, 0xff                                   // 000000011B70: 803DFF59 000000FF
	v_mov_b32_e32 v41, s61                                     // 000000011B78: 7E52023D
	v_lshrrev_b32_e32 v240, 4, v0                              // 000000011B7C: 21E00084
	v_mul_i32_i24_e32 v240, 4, v240                            // 000000011B80: 0DE1E084
	v_add_u32_e32 v240, s60, v240                              // 000000011B84: 69E1E03C
	v_and_b32_e32 v42, 15, v0                                  // 000000011B88: 2654008F
	v_lshrrev_b32_e32 v42, 3, v42                              // 000000011B8C: 20545483
	s_mov_b32 s61, 0                                           // 000000011B90: BEBD0080
	s_mul_i32 s60, 16, s7                                      // 000000011B94: 923C0790
	v_add_u32_e32 v42, s61, v42                                // 000000011B98: 6854543D
	v_sub_u32_e32 v240, v240, v42                              // 000000011B9C: 6BE055F0
	v_add_u32_e32 v240, s60, v240                              // 000000011BA0: 69E1E03C
	v_add_u32_e32 v241, 1, v240                                // 000000011BA4: 69E3E081
	v_add_u32_e32 v242, 2, v240                                // 000000011BA8: 69E5E082
	v_add_u32_e32 v243, 3, v240                                // 000000011BAC: 69E7E083
	v_cmp_le_u32_e64 s[40:41], v240, v41                       // 000000011BB0: D0CB0028 000253F0
	v_add_u32_e32 v240, 64, v240                               // 000000011BB8: 69E1E0C0
	s_nop 0                                                    // 000000011BBC: BF800000
	v_cndmask_b32_e64 v128, v69, v128, s[40:41]                // 000000011BC0: D1000080 00A30145
	v_cmp_le_u32_e64 s[40:41], v241, v41                       // 000000011BC8: D0CB0028 000253F1
	v_add_u32_e32 v241, 64, v241                               // 000000011BD0: 69E3E2C0
	s_nop 0                                                    // 000000011BD4: BF800000
	v_cndmask_b32_e64 v129, v69, v129, s[40:41]                // 000000011BD8: D1000081 00A30345
	v_cmp_le_u32_e64 s[40:41], v242, v41                       // 000000011BE0: D0CB0028 000253F2
	v_add_u32_e32 v242, 64, v242                               // 000000011BE8: 69E5E4C0
	s_nop 0                                                    // 000000011BEC: BF800000
	v_cndmask_b32_e64 v130, v69, v130, s[40:41]                // 000000011BF0: D1000082 00A30545
	v_cmp_le_u32_e64 s[40:41], v243, v41                       // 000000011BF8: D0CB0028 000253F3
	v_add_u32_e32 v243, 64, v243                               // 000000011C00: 69E7E6C0
	s_nop 0                                                    // 000000011C04: BF800000
	v_cndmask_b32_e64 v131, v69, v131, s[40:41]                // 000000011C08: D1000083 00A30745
	v_cmp_le_u32_e64 s[40:41], v240, v41                       // 000000011C10: D0CB0028 000253F0
	v_add_u32_e32 v240, 64, v240                               // 000000011C18: 69E1E0C0
	s_nop 0                                                    // 000000011C1C: BF800000
	v_cndmask_b32_e64 v132, v69, v132, s[40:41]                // 000000011C20: D1000084 00A30945
	v_cmp_le_u32_e64 s[40:41], v241, v41                       // 000000011C28: D0CB0028 000253F1
	v_add_u32_e32 v241, 64, v241                               // 000000011C30: 69E3E2C0
	s_nop 0                                                    // 000000011C34: BF800000
	v_cndmask_b32_e64 v133, v69, v133, s[40:41]                // 000000011C38: D1000085 00A30B45
	v_cmp_le_u32_e64 s[40:41], v242, v41                       // 000000011C40: D0CB0028 000253F2
	v_add_u32_e32 v242, 64, v242                               // 000000011C48: 69E5E4C0
	s_nop 0                                                    // 000000011C4C: BF800000
	v_cndmask_b32_e64 v134, v69, v134, s[40:41]                // 000000011C50: D1000086 00A30D45
	v_cmp_le_u32_e64 s[40:41], v243, v41                       // 000000011C58: D0CB0028 000253F3
	v_add_u32_e32 v243, 64, v243                               // 000000011C60: 69E7E6C0
	s_nop 0                                                    // 000000011C64: BF800000
	v_cndmask_b32_e64 v135, v69, v135, s[40:41]                // 000000011C68: D1000087 00A30F45
	v_cmp_le_u32_e64 s[40:41], v240, v41                       // 000000011C70: D0CB0028 000253F0
	v_add_u32_e32 v240, 64, v240                               // 000000011C78: 69E1E0C0
	s_nop 0                                                    // 000000011C7C: BF800000
	v_cndmask_b32_e64 v136, v69, v136, s[40:41]                // 000000011C80: D1000088 00A31145
	v_cmp_le_u32_e64 s[40:41], v241, v41                       // 000000011C88: D0CB0028 000253F1
	v_add_u32_e32 v241, 64, v241                               // 000000011C90: 69E3E2C0
	s_nop 0                                                    // 000000011C94: BF800000
	v_cndmask_b32_e64 v137, v69, v137, s[40:41]                // 000000011C98: D1000089 00A31345
	v_cmp_le_u32_e64 s[40:41], v242, v41                       // 000000011CA0: D0CB0028 000253F2
	v_add_u32_e32 v242, 64, v242                               // 000000011CA8: 69E5E4C0
	s_nop 0                                                    // 000000011CAC: BF800000
	v_cndmask_b32_e64 v138, v69, v138, s[40:41]                // 000000011CB0: D100008A 00A31545
	v_cmp_le_u32_e64 s[40:41], v243, v41                       // 000000011CB8: D0CB0028 000253F3
	v_add_u32_e32 v243, 64, v243                               // 000000011CC0: 69E7E6C0
	s_nop 0                                                    // 000000011CC4: BF800000
	v_cndmask_b32_e64 v139, v69, v139, s[40:41]                // 000000011CC8: D100008B 00A31745
	v_cmp_le_u32_e64 s[40:41], v240, v41                       // 000000011CD0: D0CB0028 000253F0
	v_add_u32_e32 v240, 64, v240                               // 000000011CD8: 69E1E0C0
	s_nop 0                                                    // 000000011CDC: BF800000
	v_cndmask_b32_e64 v140, v69, v140, s[40:41]                // 000000011CE0: D100008C 00A31945
	v_cmp_le_u32_e64 s[40:41], v241, v41                       // 000000011CE8: D0CB0028 000253F1
	v_add_u32_e32 v241, 64, v241                               // 000000011CF0: 69E3E2C0
	s_nop 0                                                    // 000000011CF4: BF800000
	v_cndmask_b32_e64 v141, v69, v141, s[40:41]                // 000000011CF8: D100008D 00A31B45
	v_cmp_le_u32_e64 s[40:41], v242, v41                       // 000000011D00: D0CB0028 000253F2
	v_add_u32_e32 v242, 64, v242                               // 000000011D08: 69E5E4C0
	s_nop 0                                                    // 000000011D0C: BF800000
	v_cndmask_b32_e64 v142, v69, v142, s[40:41]                // 000000011D10: D100008E 00A31D45
	v_cmp_le_u32_e64 s[40:41], v243, v41                       // 000000011D18: D0CB0028 000253F3
	v_add_u32_e32 v243, 64, v243                               // 000000011D20: 69E7E6C0
	s_nop 0                                                    // 000000011D24: BF800000
	v_cndmask_b32_e64 v143, v69, v143, s[40:41]                // 000000011D28: D100008F 00A31F45

0000000000011d30 <label_3ECC>:
	s_and_b32 s60, s72, 0xff                                   // 000000011D30: 863CFF48 000000FF
	v_mov_b32_e32 v42, s60                                     // 000000011D38: 7E54023C
	v_lshrrev_b32_e32 v240, 4, v0                              // 000000011D3C: 21E00084
	v_mul_i32_i24_e32 v240, 4, v240                            // 000000011D40: 0DE1E084
	s_mul_i32 s60, s7, 16                                      // 000000011D44: 923C9007
	v_add_u32_e32 v240, s60, v240                              // 000000011D48: 69E1E03C
	v_add_u32_e32 v241, 1, v240                                // 000000011D4C: 69E3E081
	v_add_u32_e32 v242, 2, v240                                // 000000011D50: 69E5E082
	v_add_u32_e32 v243, 3, v240                                // 000000011D54: 69E7E083
	v_mov_b32_e32 v41, 0xff800000                              // 000000011D58: 7E5202FF FF800000
	v_cmp_lt_u32_e64 s[40:41], v240, v42                       // 000000011D60: D0C90028 000255F0
	v_add_u32_e32 v240, 64, v240                               // 000000011D68: 69E1E0C0
	s_nop 0                                                    // 000000011D6C: BF800000
	v_cndmask_b32_e64 v128, v41, v128, s[40:41]                // 000000011D70: D1000080 00A30129
	v_cmp_lt_u32_e64 s[40:41], v241, v42                       // 000000011D78: D0C90028 000255F1
	v_add_u32_e32 v241, 64, v241                               // 000000011D80: 69E3E2C0
	s_nop 0                                                    // 000000011D84: BF800000
	v_cndmask_b32_e64 v129, v41, v129, s[40:41]                // 000000011D88: D1000081 00A30329
	v_cmp_lt_u32_e64 s[40:41], v242, v42                       // 000000011D90: D0C90028 000255F2
	v_add_u32_e32 v242, 64, v242                               // 000000011D98: 69E5E4C0
	s_nop 0                                                    // 000000011D9C: BF800000
	v_cndmask_b32_e64 v130, v41, v130, s[40:41]                // 000000011DA0: D1000082 00A30529
	v_cmp_lt_u32_e64 s[40:41], v243, v42                       // 000000011DA8: D0C90028 000255F3
	v_add_u32_e32 v243, 64, v243                               // 000000011DB0: 69E7E6C0
	s_nop 0                                                    // 000000011DB4: BF800000
	v_cndmask_b32_e64 v131, v41, v131, s[40:41]                // 000000011DB8: D1000083 00A30729
	v_cmp_lt_u32_e64 s[40:41], v240, v42                       // 000000011DC0: D0C90028 000255F0
	v_add_u32_e32 v240, 64, v240                               // 000000011DC8: 69E1E0C0
	s_nop 0                                                    // 000000011DCC: BF800000
	v_cndmask_b32_e64 v132, v41, v132, s[40:41]                // 000000011DD0: D1000084 00A30929
	v_cmp_lt_u32_e64 s[40:41], v241, v42                       // 000000011DD8: D0C90028 000255F1
	v_add_u32_e32 v241, 64, v241                               // 000000011DE0: 69E3E2C0
	s_nop 0                                                    // 000000011DE4: BF800000
	v_cndmask_b32_e64 v133, v41, v133, s[40:41]                // 000000011DE8: D1000085 00A30B29
	v_cmp_lt_u32_e64 s[40:41], v242, v42                       // 000000011DF0: D0C90028 000255F2
	v_add_u32_e32 v242, 64, v242                               // 000000011DF8: 69E5E4C0
	s_nop 0                                                    // 000000011DFC: BF800000
	v_cndmask_b32_e64 v134, v41, v134, s[40:41]                // 000000011E00: D1000086 00A30D29
	v_cmp_lt_u32_e64 s[40:41], v243, v42                       // 000000011E08: D0C90028 000255F3
	v_add_u32_e32 v243, 64, v243                               // 000000011E10: 69E7E6C0
	s_nop 0                                                    // 000000011E14: BF800000
	v_cndmask_b32_e64 v135, v41, v135, s[40:41]                // 000000011E18: D1000087 00A30F29
	v_cmp_lt_u32_e64 s[40:41], v240, v42                       // 000000011E20: D0C90028 000255F0
	v_add_u32_e32 v240, 64, v240                               // 000000011E28: 69E1E0C0
	s_nop 0                                                    // 000000011E2C: BF800000
	v_cndmask_b32_e64 v136, v41, v136, s[40:41]                // 000000011E30: D1000088 00A31129
	v_cmp_lt_u32_e64 s[40:41], v241, v42                       // 000000011E38: D0C90028 000255F1
	v_add_u32_e32 v241, 64, v241                               // 000000011E40: 69E3E2C0
	s_nop 0                                                    // 000000011E44: BF800000
	v_cndmask_b32_e64 v137, v41, v137, s[40:41]                // 000000011E48: D1000089 00A31329
	v_cmp_lt_u32_e64 s[40:41], v242, v42                       // 000000011E50: D0C90028 000255F2
	v_add_u32_e32 v242, 64, v242                               // 000000011E58: 69E5E4C0
	s_nop 0                                                    // 000000011E5C: BF800000
	v_cndmask_b32_e64 v138, v41, v138, s[40:41]                // 000000011E60: D100008A 00A31529
	v_cmp_lt_u32_e64 s[40:41], v243, v42                       // 000000011E68: D0C90028 000255F3
	v_add_u32_e32 v243, 64, v243                               // 000000011E70: 69E7E6C0
	s_nop 0                                                    // 000000011E74: BF800000
	v_cndmask_b32_e64 v139, v41, v139, s[40:41]                // 000000011E78: D100008B 00A31729
	v_cmp_lt_u32_e64 s[40:41], v240, v42                       // 000000011E80: D0C90028 000255F0
	v_add_u32_e32 v240, 64, v240                               // 000000011E88: 69E1E0C0
	s_nop 0                                                    // 000000011E8C: BF800000
	v_cndmask_b32_e64 v140, v41, v140, s[40:41]                // 000000011E90: D100008C 00A31929
	v_cmp_lt_u32_e64 s[40:41], v241, v42                       // 000000011E98: D0C90028 000255F1
	v_add_u32_e32 v241, 64, v241                               // 000000011EA0: 69E3E2C0
	s_nop 0                                                    // 000000011EA4: BF800000
	v_cndmask_b32_e64 v141, v41, v141, s[40:41]                // 000000011EA8: D100008D 00A31B29
	v_cmp_lt_u32_e64 s[40:41], v242, v42                       // 000000011EB0: D0C90028 000255F2
	v_add_u32_e32 v242, 64, v242                               // 000000011EB8: 69E5E4C0
	s_nop 0                                                    // 000000011EBC: BF800000
	v_cndmask_b32_e64 v142, v41, v142, s[40:41]                // 000000011EC0: D100008E 00A31D29
	v_cmp_lt_u32_e64 s[40:41], v243, v42                       // 000000011EC8: D0C90028 000255F3
	v_add_u32_e32 v243, 64, v243                               // 000000011ED0: 69E7E6C0
	s_nop 0                                                    // 000000011ED4: BF800000
	v_cndmask_b32_e64 v143, v41, v143, s[40:41]                // 000000011ED8: D100008F 00A31F29
	v_mov_b32_e32 v62, v128                                    // 000000011EE0: 7E7C0380
	v_max3_f32 v62, v128, v129, v62                            // 000000011EE4: D1D3003E 04FB0380
	v_max3_f32 v62, v130, v131, v62                            // 000000011EEC: D1D3003E 04FB0782
	v_max3_f32 v62, v132, v133, v62                            // 000000011EF4: D1D3003E 04FB0B84
	v_max3_f32 v62, v134, v135, v62                            // 000000011EFC: D1D3003E 04FB0F86
	v_max3_f32 v62, v136, v137, v62                            // 000000011F04: D1D3003E 04FB1388
	v_max3_f32 v62, v138, v139, v62                            // 000000011F0C: D1D3003E 04FB178A
	v_max3_f32 v62, v140, v141, v62                            // 000000011F14: D1D3003E 04FB1B8C
	v_max3_f32 v62, v142, v143, v62                            // 000000011F1C: D1D3003E 04FB1F8E
	ds_write_b32 v11, v62 offset:16896                         // 000000011F24: D81A4200 00003E0B
	v_mul_u32_u24_dpp v41, v19, v68 row_newbcast:1 row_mask:0xf bank_mask:0xf// 000000011F2C: 105288FA FF015113
	v_mul_u32_u24_dpp v42, v19, v68 row_newbcast:5 row_mask:0xf bank_mask:0xf// 000000011F34: 105488FA FF015513
	v_mul_u32_u24_dpp v43, v19, v68 row_newbcast:9 row_mask:0xf bank_mask:0xf// 000000011F3C: 105688FA FF015913
	v_mul_u32_u24_dpp v44, v19, v68 row_newbcast:13 row_mask:0xf bank_mask:0xf// 000000011F44: 105888FA FF015D13
	v_add_u32_e32 v33, v41, v7                                 // 000000011F4C: 68420F29
	v_add_u32_e32 v34, v42, v7                                 // 000000011F50: 68440F2A
	v_add_u32_e32 v35, v43, v7                                 // 000000011F54: 68460F2B
	v_add_u32_e32 v36, v44, v7                                 // 000000011F58: 68480F2C
	v_mul_f32_e32 v224, v63, v224                              // 000000011F5C: 0BC1C13F
	v_mul_f32_e32 v225, v63, v225                              // 000000011F60: 0BC3C33F
	v_mul_f32_e32 v226, v63, v226                              // 000000011F64: 0BC5C53F
	v_mul_f32_e32 v227, v63, v227                              // 000000011F68: 0BC7C73F
	v_mul_f32_e32 v228, v63, v228                              // 000000011F6C: 0BC9C93F
	v_mul_f32_e32 v229, v63, v229                              // 000000011F70: 0BCBCB3F
	v_mul_f32_e32 v230, v63, v230                              // 000000011F74: 0BCDCD3F
	v_mul_f32_e32 v231, v63, v231                              // 000000011F78: 0BCFCF3F
	s_waitcnt lgkmcnt(0)                                       // 000000011F7C: BF8CC07F
	s_barrier                                                  // 000000011F80: BF8A0000
	ds_read_b32 v80, v10 offset:16896                          // 000000011F84: D86C4200 5000000A
	ds_read_b32 v81, v10 offset:16960                          // 000000011F8C: D86C4240 5100000A
	ds_read_b32 v82, v10 offset:17024                          // 000000011F94: D86C4280 5200000A
	ds_read_b32 v83, v10 offset:17088                          // 000000011F9C: D86C42C0 5300000A
	ds_read_b32 v84, v10 offset:17152                          // 000000011FA4: D86C4300 5400000A
	ds_read_b32 v85, v10 offset:17216                          // 000000011FAC: D86C4340 5500000A
	ds_read_b32 v86, v10 offset:17280                          // 000000011FB4: D86C4380 5600000A
	ds_read_b32 v87, v10 offset:17344                          // 000000011FBC: D86C43C0 5700000A
	ds_read_b32 v88, v10 offset:17408                          // 000000011FC4: D86C4400 5800000A
	ds_read_b32 v89, v10 offset:17472                          // 000000011FCC: D86C4440 5900000A
	ds_read_b32 v90, v10 offset:17536                          // 000000011FD4: D86C4480 5A00000A
	ds_read_b32 v91, v10 offset:17600                          // 000000011FDC: D86C44C0 5B00000A
	ds_read_b32 v92, v10 offset:17664                          // 000000011FE4: D86C4500 5C00000A
	ds_read_b32 v93, v10 offset:17728                          // 000000011FEC: D86C4540 5D00000A
	ds_read_b32 v94, v10 offset:17792                          // 000000011FF4: D86C4580 5E00000A
	ds_read_b32 v95, v10 offset:17856                          // 000000011FFC: D86C45C0 5F00000A
	v_mul_f32_e32 v192, v58, v192                              // 000000012004: 0B81813A
	v_mul_f32_e32 v193, v58, v193                              // 000000012008: 0B83833A
	v_mul_f32_e32 v194, v58, v194                              // 00000001200C: 0B85853A
	v_mul_f32_e32 v195, v58, v195                              // 000000012010: 0B87873A
	v_mul_f32_e32 v196, v58, v196                              // 000000012014: 0B89893A
	v_mul_f32_e32 v197, v58, v197                              // 000000012018: 0B8B8B3A
	v_mul_f32_e32 v198, v58, v198                              // 00000001201C: 0B8D8D3A
	v_mul_f32_e32 v199, v58, v199                              // 000000012020: 0B8F8F3A
	s_waitcnt lgkmcnt(0)                                       // 000000012024: BF8CC07F
	v_max3_f32 v62, v80, v81, v62                              // 000000012028: D1D3003E 04FAA350
	v_max3_f32 v62, v82, v83, v62                              // 000000012030: D1D3003E 04FAA752
	v_max3_f32 v62, v84, v85, v62                              // 000000012038: D1D3003E 04FAAB54
	v_max3_f32 v62, v86, v87, v62                              // 000000012040: D1D3003E 04FAAF56
	v_max3_f32 v62, v88, v89, v62                              // 000000012048: D1D3003E 04FAB358
	v_max3_f32 v62, v90, v91, v62                              // 000000012050: D1D3003E 04FAB75A
	v_max3_f32 v62, v92, v93, v62                              // 000000012058: D1D3003E 04FABB5C
	v_max3_f32 v62, v94, v95, v62                              // 000000012060: D1D3003E 04FABF5E
	v_mov_b32_e32 v41, 0xff800000                              // 000000012068: 7E5202FF FF800000
	v_cmp_eq_u32_e64 s[40:41], v41, v14                        // 000000012070: D0CA0028 00021D29
	s_nop 1                                                    // 000000012078: BF800001
	v_max_f32_e32 v18, v62, v14                                // 00000001207C: 16241D3E
	v_mul_f32_e32 v67, s64, v18                                // 000000012080: 0A862440
	v_fma_f32 v128, v128, s64, -v67                            // 000000012084: D1CB0080 850C8180
	v_fma_f32 v129, v129, s64, -v67                            // 00000001208C: D1CB0081 850C8181
	v_fma_f32 v130, v130, s64, -v67                            // 000000012094: D1CB0082 850C8182
	v_fma_f32 v131, v131, s64, -v67                            // 00000001209C: D1CB0083 850C8183
	v_fma_f32 v132, v132, s64, -v67                            // 0000000120A4: D1CB0084 850C8184
	v_fma_f32 v133, v133, s64, -v67                            // 0000000120AC: D1CB0085 850C8185
	v_fma_f32 v134, v134, s64, -v67                            // 0000000120B4: D1CB0086 850C8186
	v_fma_f32 v135, v135, s64, -v67                            // 0000000120BC: D1CB0087 850C8187
	v_fma_f32 v136, v136, s64, -v67                            // 0000000120C4: D1CB0088 850C8188
	v_fma_f32 v137, v137, s64, -v67                            // 0000000120CC: D1CB0089 850C8189
	v_fma_f32 v138, v138, s64, -v67                            // 0000000120D4: D1CB008A 850C818A
	v_fma_f32 v139, v139, s64, -v67                            // 0000000120DC: D1CB008B 850C818B
	v_fma_f32 v140, v140, s64, -v67                            // 0000000120E4: D1CB008C 850C818C
	v_fma_f32 v141, v141, s64, -v67                            // 0000000120EC: D1CB008D 850C818D
	v_fma_f32 v142, v142, s64, -v67                            // 0000000120F4: D1CB008E 850C818E
	v_fma_f32 v143, v143, s64, -v67                            // 0000000120FC: D1CB008F 850C818F
	v_exp_f32_e32 v128, v128                                   // 000000012104: 7F004180
	v_exp_f32_e32 v129, v129                                   // 000000012108: 7F024181
	v_exp_f32_e32 v130, v130                                   // 00000001210C: 7F044182
	v_exp_f32_e32 v131, v131                                   // 000000012110: 7F064183
	v_exp_f32_e32 v132, v132                                   // 000000012114: 7F084184
	v_exp_f32_e32 v133, v133                                   // 000000012118: 7F0A4185
	v_exp_f32_e32 v134, v134                                   // 00000001211C: 7F0C4186
	v_exp_f32_e32 v135, v135                                   // 000000012120: 7F0E4187
	v_exp_f32_e32 v136, v136                                   // 000000012124: 7F104188
	v_exp_f32_e32 v137, v137                                   // 000000012128: 7F124189
	v_exp_f32_e32 v138, v138                                   // 00000001212C: 7F14418A
	v_exp_f32_e32 v139, v139                                   // 000000012130: 7F16418B
	v_exp_f32_e32 v140, v140                                   // 000000012134: 7F18418C
	v_exp_f32_e32 v141, v141                                   // 000000012138: 7F1A418D
	v_exp_f32_e32 v142, v142                                   // 00000001213C: 7F1C418E
	v_exp_f32_e32 v143, v143                                   // 000000012140: 7F1E418F
	v_mul_f32_dpp v240, v252, v128 quad_perm:[0,0,0,0] row_mask:0xf bank_mask:0xf// 000000012144: 0BE100FA FF0000FC
	v_mul_f32_dpp v241, v252, v129 quad_perm:[1,1,1,1] row_mask:0xf bank_mask:0xf// 00000001214C: 0BE302FA FF0055FC
	v_mul_f32_dpp v242, v252, v130 quad_perm:[2,2,2,2] row_mask:0xf bank_mask:0xf// 000000012154: 0BE504FA FF00AAFC
	v_mul_f32_dpp v243, v252, v131 quad_perm:[3,3,3,3] row_mask:0xf bank_mask:0xf// 00000001215C: 0BE706FA FF00FFFC
	v_mul_f32_dpp v244, v253, v132 quad_perm:[0,0,0,0] row_mask:0xf bank_mask:0xf// 000000012164: 0BE908FA FF0000FD
	v_mul_f32_dpp v245, v253, v133 quad_perm:[1,1,1,1] row_mask:0xf bank_mask:0xf// 00000001216C: 0BEB0AFA FF0055FD
	v_mul_f32_dpp v246, v253, v134 quad_perm:[2,2,2,2] row_mask:0xf bank_mask:0xf// 000000012174: 0BED0CFA FF00AAFD
	v_mul_f32_dpp v247, v253, v135 quad_perm:[3,3,3,3] row_mask:0xf bank_mask:0xf// 00000001217C: 0BEF0EFA FF00FFFD
	v_mul_f32_dpp v248, v254, v136 quad_perm:[0,0,0,0] row_mask:0xf bank_mask:0xf// 000000012184: 0BF110FA FF0000FE
	v_mul_f32_dpp v249, v254, v137 quad_perm:[1,1,1,1] row_mask:0xf bank_mask:0xf// 00000001218C: 0BF312FA FF0055FE
	v_mul_f32_dpp v250, v254, v138 quad_perm:[2,2,2,2] row_mask:0xf bank_mask:0xf// 000000012194: 0BF514FA FF00AAFE
	v_mul_f32_dpp v251, v254, v139 quad_perm:[3,3,3,3] row_mask:0xf bank_mask:0xf// 00000001219C: 0BF716FA FF00FFFE
	v_mul_f32_dpp v252, v255, v140 quad_perm:[0,0,0,0] row_mask:0xf bank_mask:0xf// 0000000121A4: 0BF918FA FF0000FF
	v_mul_f32_dpp v253, v255, v141 quad_perm:[1,1,1,1] row_mask:0xf bank_mask:0xf// 0000000121AC: 0BFB1AFA FF0055FF
	v_mul_f32_dpp v254, v255, v142 quad_perm:[2,2,2,2] row_mask:0xf bank_mask:0xf// 0000000121B4: 0BFD1CFA FF00AAFF
	v_mul_f32_dpp v255, v255, v143 quad_perm:[3,3,3,3] row_mask:0xf bank_mask:0xf// 0000000121BC: 0BFF1EFA FF00FFFF
	v_mov_b32_e32 v62, 0x358637bd                              // 0000000121C4: 7E7C02FF 358637BD
	v_max3_f32 v62, |v240|, |v241|, v62                        // 0000000121CC: D1D3033E 04FBE3F0
	v_max3_f32 v62, |v242|, |v243|, v62                        // 0000000121D4: D1D3033E 04FBE7F2
	v_max3_f32 v62, |v244|, |v245|, v62                        // 0000000121DC: D1D3033E 04FBEBF4
	v_max3_f32 v62, |v246|, |v247|, v62                        // 0000000121E4: D1D3033E 04FBEFF6
	v_max3_f32 v62, |v248|, |v249|, v62                        // 0000000121EC: D1D3033E 04FBF3F8
	v_max3_f32 v62, |v250|, |v251|, v62                        // 0000000121F4: D1D3033E 04FBF7FA
	v_max3_f32 v62, |v252|, |v253|, v62                        // 0000000121FC: D1D3033E 04FBFBFC
	v_max3_f32 v62, |v254|, |v255|, v62                        // 000000012204: D1D3033E 04FBFFFE
	ds_write_b32 v11, v62 offset:20992                         // 00000001220C: D81A5200 00003E0B
	v_sub_f32_e32 v63, v14, v18                                // 000000012214: 047E250E
	v_cndmask_b32_e64 v63, v63, 0, s[40:41]                    // 000000012218: D100003F 00A1013F
	v_mov_b32_e32 v14, v18                                     // 000000012220: 7E1C0312
	v_mul_f32_e32 v63, s64, v63                                // 000000012224: 0A7E7E40
	v_exp_f32_e32 v63, v63                                     // 000000012228: 7E7E413F
	s_waitcnt lgkmcnt(0)                                       // 00000001222C: BF8CC07F
	s_barrier                                                  // 000000012230: BF8A0000
	ds_read_b32 v80, v10 offset:20992                          // 000000012234: D86C5200 5000000A
	ds_read_b32 v81, v10 offset:21056                          // 00000001223C: D86C5240 5100000A
	ds_read_b32 v82, v10 offset:21120                          // 000000012244: D86C5280 5200000A
	ds_read_b32 v83, v10 offset:21184                          // 00000001224C: D86C52C0 5300000A
	ds_read_b32 v84, v10 offset:21248                          // 000000012254: D86C5300 5400000A
	ds_read_b32 v85, v10 offset:21312                          // 00000001225C: D86C5340 5500000A
	ds_read_b32 v86, v10 offset:21376                          // 000000012264: D86C5380 5600000A
	ds_read_b32 v87, v10 offset:21440                          // 00000001226C: D86C53C0 5700000A
	ds_read_b32 v88, v10 offset:21504                          // 000000012274: D86C5400 5800000A
	ds_read_b32 v89, v10 offset:21568                          // 00000001227C: D86C5440 5900000A
	ds_read_b32 v90, v10 offset:21632                          // 000000012284: D86C5480 5A00000A
	ds_read_b32 v91, v10 offset:21696                          // 00000001228C: D86C54C0 5B00000A
	ds_read_b32 v92, v10 offset:21760                          // 000000012294: D86C5500 5C00000A
	ds_read_b32 v93, v10 offset:21824                          // 00000001229C: D86C5540 5D00000A
	ds_read_b32 v94, v10 offset:21888                          // 0000000122A4: D86C5580 5E00000A
	ds_read_b32 v95, v10 offset:21952                          // 0000000122AC: D86C55C0 5F00000A
	v_mul_f32_e32 v47, v63, v47                                // 0000000122B4: 0A5E5F3F
	v_mov_b32_e32 v18, v128                                    // 0000000122B8: 7E240380
	v_add_f32_e32 v18, v129, v18                               // 0000000122BC: 02242581
	v_add_f32_e32 v18, v130, v18                               // 0000000122C0: 02242582
	v_add_f32_e32 v18, v131, v18                               // 0000000122C4: 02242583
	v_add_f32_e32 v18, v132, v18                               // 0000000122C8: 02242584
	v_add_f32_e32 v18, v133, v18                               // 0000000122CC: 02242585
	v_add_f32_e32 v18, v134, v18                               // 0000000122D0: 02242586
	v_add_f32_e32 v18, v135, v18                               // 0000000122D4: 02242587
	v_add_f32_e32 v18, v136, v18                               // 0000000122D8: 02242588
	v_add_f32_e32 v18, v137, v18                               // 0000000122DC: 02242589
	v_add_f32_e32 v18, v138, v18                               // 0000000122E0: 0224258A
	v_add_f32_e32 v18, v139, v18                               // 0000000122E4: 0224258B
	v_add_f32_e32 v18, v140, v18                               // 0000000122E8: 0224258C
	v_add_f32_e32 v18, v141, v18                               // 0000000122EC: 0224258D
	v_add_f32_e32 v18, v142, v18                               // 0000000122F0: 0224258E
	v_add_f32_e32 v18, v143, v18                               // 0000000122F4: 0224258F
	v_add_f32_e32 v47, v18, v47                                // 0000000122F8: 025E5F12
	s_waitcnt lgkmcnt(0)                                       // 0000000122FC: BF8CC07F
	v_max3_f32 v62, |v80|, |v81|, v62                          // 000000012300: D1D3033E 04FAA350
	v_max3_f32 v62, |v82|, |v83|, v62                          // 000000012308: D1D3033E 04FAA752
	v_max3_f32 v62, |v84|, |v85|, v62                          // 000000012310: D1D3033E 04FAAB54
	v_max3_f32 v62, |v86|, |v87|, v62                          // 000000012318: D1D3033E 04FAAF56
	v_max3_f32 v62, |v88|, |v89|, v62                          // 000000012320: D1D3033E 04FAB358
	v_max3_f32 v62, |v90|, |v91|, v62                          // 000000012328: D1D3033E 04FAB75A
	v_max3_f32 v62, |v92|, |v93|, v62                          // 000000012330: D1D3033E 04FABB5C
	v_max3_f32 v62, |v94|, |v95|, v62                          // 000000012338: D1D3033E 04FABF5E
	s_nop 2                                                    // 000000012340: BF800002
	v_rcp_f32_e32 v62, v62                                     // 000000012344: 7E7C453E
	s_nop 1                                                    // 000000012348: BF800001
	v_mul_f32_e32 v62, 0x43e00000, v62                         // 00000001234C: 0A7C7CFF 43E00000
	v_mul_f32_e32 v128, v62, v240                              // 000000012354: 0B01E13E
	v_mul_f32_e32 v129, v62, v241                              // 000000012358: 0B03E33E
	v_mul_f32_e32 v130, v62, v242                              // 00000001235C: 0B05E53E
	v_mul_f32_e32 v131, v62, v243                              // 000000012360: 0B07E73E
	v_mul_f32_e32 v132, v62, v244                              // 000000012364: 0B09E93E
	v_mul_f32_e32 v133, v62, v245                              // 000000012368: 0B0BEB3E
	v_mul_f32_e32 v134, v62, v246                              // 00000001236C: 0B0DED3E
	v_mul_f32_e32 v135, v62, v247                              // 000000012370: 0B0FEF3E
	v_mul_f32_e32 v136, v62, v248                              // 000000012374: 0B11F13E
	v_mul_f32_e32 v137, v62, v249                              // 000000012378: 0B13F33E
	v_mul_f32_e32 v138, v62, v250                              // 00000001237C: 0B15F53E
	v_mul_f32_e32 v139, v62, v251                              // 000000012380: 0B17F73E
	v_mul_f32_e32 v140, v62, v252                              // 000000012384: 0B19F93E
	v_mul_f32_e32 v141, v62, v253                              // 000000012388: 0B1BFB3E
	v_mul_f32_e32 v142, v62, v254                              // 00000001238C: 0B1DFD3E
	v_mul_f32_e32 v143, v62, v255                              // 000000012390: 0B1FFF3E
	v_cvt_pk_fp8_f32 v128, v128, v129                          // 000000012394: D2A20080 00030380
	v_cvt_pk_fp8_f32 v128, v130, v131 op_sel:[0,0,1]           // 00000001239C: D2A24080 00030782
	v_cvt_pk_fp8_f32 v129, v132, v133                          // 0000000123A4: D2A20081 00030B84
	v_cvt_pk_fp8_f32 v129, v134, v135 op_sel:[0,0,1]           // 0000000123AC: D2A24081 00030F86
	v_cvt_pk_fp8_f32 v130, v136, v137                          // 0000000123B4: D2A20082 00031388
	v_cvt_pk_fp8_f32 v130, v138, v139 op_sel:[0,0,1]           // 0000000123BC: D2A24082 0003178A
	v_cvt_pk_fp8_f32 v131, v140, v141                          // 0000000123C4: D2A20083 00031B8C
	v_cvt_pk_fp8_f32 v131, v142, v143 op_sel:[0,0,1]           // 0000000123CC: D2A24083 00031F8E
	ds_write_b32 v13, v128 offset:25088                        // 0000000123D4: D81A6200 0000800D
	ds_write_b32 v13, v129 offset:26112                        // 0000000123DC: D81A6600 0000810D
	ds_write_b32 v13, v130 offset:27136                        // 0000000123E4: D81A6A00 0000820D
	ds_write_b32 v13, v131 offset:28160                        // 0000000123EC: D81A6E00 0000830D
	v_add_f32_e32 v224, v224, v192                             // 0000000123F4: 03C181E0
	v_add_f32_e32 v225, v225, v193                             // 0000000123F8: 03C383E1
	v_add_f32_e32 v226, v226, v194                             // 0000000123FC: 03C585E2
	v_add_f32_e32 v227, v227, v195                             // 000000012400: 03C787E3
	v_add_f32_e32 v228, v228, v196                             // 000000012404: 03C989E4
	v_add_f32_e32 v229, v229, v197                             // 000000012408: 03CB8BE5
	v_add_f32_e32 v230, v230, v198                             // 00000001240C: 03CD8DE6
	v_add_f32_e32 v231, v231, v199                             // 000000012410: 03CF8FE7
	v_rcp_f32_e32 v58, v62                                     // 000000012414: 7E74453E
	s_waitcnt lgkmcnt(0)                                       // 000000012418: BF8CC07F
	s_barrier                                                  // 00000001241C: BF8A0000
	ds_read_b64 v[128:129], v12 offset:25088                   // 000000012420: D8EC6200 8000000C
	ds_read_b64 v[130:131], v12 offset:25216                   // 000000012428: D8EC6280 8200000C
	ds_read_b64 v[132:133], v12 offset:26112                   // 000000012430: D8EC6600 8400000C
	ds_read_b64 v[134:135], v12 offset:26240                   // 000000012438: D8EC6680 8600000C
	ds_read_b64 v[136:137], v12 offset:27136                   // 000000012440: D8EC6A00 8800000C
	ds_read_b64 v[138:139], v12 offset:27264                   // 000000012448: D8EC6A80 8A00000C
	ds_read_b64 v[140:141], v12 offset:28160                   // 000000012450: D8EC6E00 8C00000C
	ds_read_b64 v[142:143], v12 offset:28288                   // 000000012458: D8EC6E80 8E00000C
	v_mov_b32_dpp v41, v53 row_shr:4 row_mask:0xf bank_mask:0xf// 000000012460: 7E5202FA FF011435
	v_mov_b32_dpp v42, v53 row_shl:4 row_mask:0xf bank_mask:0xf// 000000012468: 7E5402FA FF010435
	v_cndmask_b32_e64 v248, v53, v41, s[44:45]                 // 000000012470: D10000F8 00B25335
	v_cndmask_b32_e64 v249, v42, v53, s[44:45]                 // 000000012478: D10000F9 00B26B2A
	v_mov_b32_dpp v41, v248 row_shr:8 row_mask:0xf bank_mask:0xf// 000000012480: 7E5202FA FF0118F8
	v_mov_b32_dpp v42, v248 row_shl:8 row_mask:0xf bank_mask:0xf// 000000012488: 7E5402FA FF0108F8
	v_mov_b32_dpp v43, v249 row_shr:8 row_mask:0xf bank_mask:0xf// 000000012490: 7E5602FA FF0118F9
	v_mov_b32_dpp v44, v249 row_shl:8 row_mask:0xf bank_mask:0xf// 000000012498: 7E5802FA FF0108F9
	v_mov_b32_e32 v45, v248                                    // 0000000124A0: 7E5A03F8
	v_mov_b32_e32 v46, v249                                    // 0000000124A4: 7E5C03F9
	v_cndmask_b32_e64 v248, v45, v41, s[42:43]                 // 0000000124A8: D10000F8 00AA532D
	v_cndmask_b32_e64 v250, v45, v42, s[78:79]                 // 0000000124B0: D10000FA 013A552D
	v_cndmask_b32_e64 v249, v46, v43, s[42:43]                 // 0000000124B8: D10000F9 00AA572E
	v_cndmask_b32_e64 v251, v46, v44, s[78:79]                 // 0000000124C0: D10000FB 013A592E
	v_mov_b32_dpp v41, v73 row_shr:4 row_mask:0xf bank_mask:0xf// 0000000124C8: 7E5202FA FF011449
	v_mov_b32_dpp v42, v73 row_shl:4 row_mask:0xf bank_mask:0xf// 0000000124D0: 7E5402FA FF010449
	v_cndmask_b32_e64 v252, v73, v41, s[44:45]                 // 0000000124D8: D10000FC 00B25349
	v_cndmask_b32_e64 v253, v42, v73, s[44:45]                 // 0000000124E0: D10000FD 00B2932A
	v_mov_b32_dpp v41, v252 row_shr:8 row_mask:0xf bank_mask:0xf// 0000000124E8: 7E5202FA FF0118FC
	v_mov_b32_dpp v42, v252 row_shl:8 row_mask:0xf bank_mask:0xf// 0000000124F0: 7E5402FA FF0108FC
	v_mov_b32_dpp v43, v253 row_shr:8 row_mask:0xf bank_mask:0xf// 0000000124F8: 7E5602FA FF0118FD
	v_mov_b32_dpp v44, v253 row_shl:8 row_mask:0xf bank_mask:0xf// 000000012500: 7E5802FA FF0108FD
	v_mov_b32_e32 v45, v252                                    // 000000012508: 7E5A03FC
	v_mov_b32_e32 v46, v253                                    // 00000001250C: 7E5C03FD
	v_cndmask_b32_e64 v252, v45, v41, s[42:43]                 // 000000012510: D10000FC 00AA532D
	v_cndmask_b32_e64 v254, v45, v42, s[78:79]                 // 000000012518: D10000FE 013A552D
	v_cndmask_b32_e64 v253, v46, v43, s[42:43]                 // 000000012520: D10000FD 00AA572E
	v_cndmask_b32_e64 v255, v46, v44, s[78:79]                 // 000000012528: D10000FF 013A592E
	v_mul_f32_e32 v144, v55, v144                              // 000000012530: 0B212137
	v_mul_f32_e32 v145, v55, v145                              // 000000012534: 0B232337
	v_mul_f32_e32 v146, v55, v146                              // 000000012538: 0B252537
	v_mul_f32_e32 v147, v55, v147                              // 00000001253C: 0B272737
	v_mul_f32_e32 v148, v55, v148                              // 000000012540: 0B292937
	v_mul_f32_e32 v149, v55, v149                              // 000000012544: 0B2B2B37
	v_mul_f32_e32 v150, v55, v150                              // 000000012548: 0B2D2D37
	v_mul_f32_e32 v151, v55, v151                              // 00000001254C: 0B2F2F37
	v_mul_f32_e32 v152, v55, v152                              // 000000012550: 0B313137
	v_mul_f32_e32 v153, v55, v153                              // 000000012554: 0B333337
	v_mul_f32_e32 v154, v55, v154                              // 000000012558: 0B353537
	v_mul_f32_e32 v155, v55, v155                              // 00000001255C: 0B373737
	v_mul_f32_e32 v156, v55, v156                              // 000000012560: 0B393937
	v_mul_f32_e32 v157, v55, v157                              // 000000012564: 0B3B3B37
	v_mul_f32_e32 v158, v55, v158                              // 000000012568: 0B3D3D37
	v_mul_f32_e32 v159, v55, v159                              // 00000001256C: 0B3F3F37
	v_mul_f32_dpp v144, v248, v144 quad_perm:[0,0,0,0] row_mask:0xf bank_mask:0xf// 000000012570: 0B2120FA FF0000F8
	v_mul_f32_dpp v145, v248, v145 quad_perm:[1,1,1,1] row_mask:0xf bank_mask:0xf// 000000012578: 0B2322FA FF0055F8
	v_mul_f32_dpp v146, v248, v146 quad_perm:[2,2,2,2] row_mask:0xf bank_mask:0xf// 000000012580: 0B2524FA FF00AAF8
	v_mul_f32_dpp v147, v248, v147 quad_perm:[3,3,3,3] row_mask:0xf bank_mask:0xf// 000000012588: 0B2726FA FF00FFF8
	v_mul_f32_dpp v148, v249, v148 quad_perm:[0,0,0,0] row_mask:0xf bank_mask:0xf// 000000012590: 0B2928FA FF0000F9
	v_mul_f32_dpp v149, v249, v149 quad_perm:[1,1,1,1] row_mask:0xf bank_mask:0xf// 000000012598: 0B2B2AFA FF0055F9
	v_mul_f32_dpp v150, v249, v150 quad_perm:[2,2,2,2] row_mask:0xf bank_mask:0xf// 0000000125A0: 0B2D2CFA FF00AAF9
	v_mul_f32_dpp v151, v249, v151 quad_perm:[3,3,3,3] row_mask:0xf bank_mask:0xf// 0000000125A8: 0B2F2EFA FF00FFF9
	v_mul_f32_dpp v152, v250, v152 quad_perm:[0,0,0,0] row_mask:0xf bank_mask:0xf// 0000000125B0: 0B3130FA FF0000FA
	v_mul_f32_dpp v153, v250, v153 quad_perm:[1,1,1,1] row_mask:0xf bank_mask:0xf// 0000000125B8: 0B3332FA FF0055FA
	v_mul_f32_dpp v154, v250, v154 quad_perm:[2,2,2,2] row_mask:0xf bank_mask:0xf// 0000000125C0: 0B3534FA FF00AAFA
	v_mul_f32_dpp v155, v250, v155 quad_perm:[3,3,3,3] row_mask:0xf bank_mask:0xf// 0000000125C8: 0B3736FA FF00FFFA
	v_mul_f32_dpp v156, v251, v156 quad_perm:[0,0,0,0] row_mask:0xf bank_mask:0xf// 0000000125D0: 0B3938FA FF0000FB
	v_mul_f32_dpp v157, v251, v157 quad_perm:[1,1,1,1] row_mask:0xf bank_mask:0xf// 0000000125D8: 0B3B3AFA FF0055FB
	v_mul_f32_dpp v158, v251, v158 quad_perm:[2,2,2,2] row_mask:0xf bank_mask:0xf// 0000000125E0: 0B3D3CFA FF00AAFB
	v_mul_f32_dpp v159, v251, v159 quad_perm:[3,3,3,3] row_mask:0xf bank_mask:0xf// 0000000125E8: 0B3F3EFA FF00FFFB
	s_cmp_le_i32 s90, s89                                      // 0000000125F0: BF05595A
	s_cbranch_scc1 label_4171                                  // 0000000125F4: BF850073
	v_mov_b32_e32 v69, 0xff800000                              // 0000000125F8: 7E8A02FF FF800000
	s_mov_b32 s60, s90                                         // 000000012600: BEBC005A
	s_add_u32 s61, s89, 0xff                                   // 000000012604: 803DFF59 000000FF
	v_mov_b32_e32 v41, s61                                     // 00000001260C: 7E52023D
	v_lshrrev_b32_e32 v240, 4, v0                              // 000000012610: 21E00084
	v_mul_i32_i24_e32 v240, 4, v240                            // 000000012614: 0DE1E084
	v_add_u32_e32 v240, s60, v240                              // 000000012618: 69E1E03C
	v_and_b32_e32 v42, 15, v0                                  // 00000001261C: 2654008F
	v_lshrrev_b32_e32 v42, 3, v42                              // 000000012620: 20545483
	s_mov_b32 s61, 2                                           // 000000012624: BEBD0082
	s_mul_i32 s60, 16, s7                                      // 000000012628: 923C0790
	v_add_u32_e32 v42, s61, v42                                // 00000001262C: 6854543D
	v_sub_u32_e32 v240, v240, v42                              // 000000012630: 6BE055F0
	v_add_u32_e32 v240, s60, v240                              // 000000012634: 69E1E03C
	v_add_u32_e32 v241, 1, v240                                // 000000012638: 69E3E081
	v_add_u32_e32 v242, 2, v240                                // 00000001263C: 69E5E082
	v_add_u32_e32 v243, 3, v240                                // 000000012640: 69E7E083
	v_cmp_le_u32_e64 s[40:41], v240, v41                       // 000000012644: D0CB0028 000253F0
	v_add_u32_e32 v240, 64, v240                               // 00000001264C: 69E1E0C0
	s_nop 0                                                    // 000000012650: BF800000
	v_cndmask_b32_e64 v144, v69, v144, s[40:41]                // 000000012654: D1000090 00A32145
	v_cmp_le_u32_e64 s[40:41], v241, v41                       // 00000001265C: D0CB0028 000253F1
	v_add_u32_e32 v241, 64, v241                               // 000000012664: 69E3E2C0
	s_nop 0                                                    // 000000012668: BF800000
	v_cndmask_b32_e64 v145, v69, v145, s[40:41]                // 00000001266C: D1000091 00A32345
	v_cmp_le_u32_e64 s[40:41], v242, v41                       // 000000012674: D0CB0028 000253F2
	v_add_u32_e32 v242, 64, v242                               // 00000001267C: 69E5E4C0
	s_nop 0                                                    // 000000012680: BF800000
	v_cndmask_b32_e64 v146, v69, v146, s[40:41]                // 000000012684: D1000092 00A32545
	v_cmp_le_u32_e64 s[40:41], v243, v41                       // 00000001268C: D0CB0028 000253F3
	v_add_u32_e32 v243, 64, v243                               // 000000012694: 69E7E6C0
	s_nop 0                                                    // 000000012698: BF800000
	v_cndmask_b32_e64 v147, v69, v147, s[40:41]                // 00000001269C: D1000093 00A32745
	v_cmp_le_u32_e64 s[40:41], v240, v41                       // 0000000126A4: D0CB0028 000253F0
	v_add_u32_e32 v240, 64, v240                               // 0000000126AC: 69E1E0C0
	s_nop 0                                                    // 0000000126B0: BF800000
	v_cndmask_b32_e64 v148, v69, v148, s[40:41]                // 0000000126B4: D1000094 00A32945
	v_cmp_le_u32_e64 s[40:41], v241, v41                       // 0000000126BC: D0CB0028 000253F1
	v_add_u32_e32 v241, 64, v241                               // 0000000126C4: 69E3E2C0
	s_nop 0                                                    // 0000000126C8: BF800000
	v_cndmask_b32_e64 v149, v69, v149, s[40:41]                // 0000000126CC: D1000095 00A32B45
	v_cmp_le_u32_e64 s[40:41], v242, v41                       // 0000000126D4: D0CB0028 000253F2
	v_add_u32_e32 v242, 64, v242                               // 0000000126DC: 69E5E4C0
	s_nop 0                                                    // 0000000126E0: BF800000
	v_cndmask_b32_e64 v150, v69, v150, s[40:41]                // 0000000126E4: D1000096 00A32D45
	v_cmp_le_u32_e64 s[40:41], v243, v41                       // 0000000126EC: D0CB0028 000253F3
	v_add_u32_e32 v243, 64, v243                               // 0000000126F4: 69E7E6C0
	s_nop 0                                                    // 0000000126F8: BF800000
	v_cndmask_b32_e64 v151, v69, v151, s[40:41]                // 0000000126FC: D1000097 00A32F45
	v_cmp_le_u32_e64 s[40:41], v240, v41                       // 000000012704: D0CB0028 000253F0
	v_add_u32_e32 v240, 64, v240                               // 00000001270C: 69E1E0C0
	s_nop 0                                                    // 000000012710: BF800000
	v_cndmask_b32_e64 v152, v69, v152, s[40:41]                // 000000012714: D1000098 00A33145
	v_cmp_le_u32_e64 s[40:41], v241, v41                       // 00000001271C: D0CB0028 000253F1
	v_add_u32_e32 v241, 64, v241                               // 000000012724: 69E3E2C0
	s_nop 0                                                    // 000000012728: BF800000
	v_cndmask_b32_e64 v153, v69, v153, s[40:41]                // 00000001272C: D1000099 00A33345
	v_cmp_le_u32_e64 s[40:41], v242, v41                       // 000000012734: D0CB0028 000253F2
	v_add_u32_e32 v242, 64, v242                               // 00000001273C: 69E5E4C0
	s_nop 0                                                    // 000000012740: BF800000
	v_cndmask_b32_e64 v154, v69, v154, s[40:41]                // 000000012744: D100009A 00A33545
	v_cmp_le_u32_e64 s[40:41], v243, v41                       // 00000001274C: D0CB0028 000253F3
	v_add_u32_e32 v243, 64, v243                               // 000000012754: 69E7E6C0
	s_nop 0                                                    // 000000012758: BF800000
	v_cndmask_b32_e64 v155, v69, v155, s[40:41]                // 00000001275C: D100009B 00A33745
	v_cmp_le_u32_e64 s[40:41], v240, v41                       // 000000012764: D0CB0028 000253F0
	v_add_u32_e32 v240, 64, v240                               // 00000001276C: 69E1E0C0
	s_nop 0                                                    // 000000012770: BF800000
	v_cndmask_b32_e64 v156, v69, v156, s[40:41]                // 000000012774: D100009C 00A33945
	v_cmp_le_u32_e64 s[40:41], v241, v41                       // 00000001277C: D0CB0028 000253F1
	v_add_u32_e32 v241, 64, v241                               // 000000012784: 69E3E2C0
	s_nop 0                                                    // 000000012788: BF800000
	v_cndmask_b32_e64 v157, v69, v157, s[40:41]                // 00000001278C: D100009D 00A33B45
	v_cmp_le_u32_e64 s[40:41], v242, v41                       // 000000012794: D0CB0028 000253F2
	v_add_u32_e32 v242, 64, v242                               // 00000001279C: 69E5E4C0
	s_nop 0                                                    // 0000000127A0: BF800000
	v_cndmask_b32_e64 v158, v69, v158, s[40:41]                // 0000000127A4: D100009E 00A33D45
	v_cmp_le_u32_e64 s[40:41], v243, v41                       // 0000000127AC: D0CB0028 000253F3
	v_add_u32_e32 v243, 64, v243                               // 0000000127B4: 69E7E6C0
	s_nop 0                                                    // 0000000127B8: BF800000
	v_cndmask_b32_e64 v159, v69, v159, s[40:41]                // 0000000127BC: D100009F 00A33F45

00000000000127c4 <label_4171>:
	s_add_u32 s90, s91, s90                                    // 0000000127C4: 805A5A5B
	s_and_b32 s60, s72, 0xff                                   // 0000000127C8: 863CFF48 000000FF
	v_mov_b32_e32 v42, s60                                     // 0000000127D0: 7E54023C
	v_lshrrev_b32_e32 v240, 4, v0                              // 0000000127D4: 21E00084
	v_mul_i32_i24_e32 v240, 4, v240                            // 0000000127D8: 0DE1E084
	s_mul_i32 s60, s7, 16                                      // 0000000127DC: 923C9007
	v_add_u32_e32 v240, s60, v240                              // 0000000127E0: 69E1E03C
	v_add_u32_e32 v241, 1, v240                                // 0000000127E4: 69E3E081
	v_add_u32_e32 v242, 2, v240                                // 0000000127E8: 69E5E082
	v_add_u32_e32 v243, 3, v240                                // 0000000127EC: 69E7E083
	v_mov_b32_e32 v41, 0xff800000                              // 0000000127F0: 7E5202FF FF800000
	v_cmp_lt_u32_e64 s[40:41], v240, v42                       // 0000000127F8: D0C90028 000255F0
	v_add_u32_e32 v240, 64, v240                               // 000000012800: 69E1E0C0
	s_nop 0                                                    // 000000012804: BF800000
	v_cndmask_b32_e64 v144, v41, v144, s[40:41]                // 000000012808: D1000090 00A32129
	v_cmp_lt_u32_e64 s[40:41], v241, v42                       // 000000012810: D0C90028 000255F1
	v_add_u32_e32 v241, 64, v241                               // 000000012818: 69E3E2C0
	s_nop 0                                                    // 00000001281C: BF800000
	v_cndmask_b32_e64 v145, v41, v145, s[40:41]                // 000000012820: D1000091 00A32329
	v_cmp_lt_u32_e64 s[40:41], v242, v42                       // 000000012828: D0C90028 000255F2
	v_add_u32_e32 v242, 64, v242                               // 000000012830: 69E5E4C0
	s_nop 0                                                    // 000000012834: BF800000
	v_cndmask_b32_e64 v146, v41, v146, s[40:41]                // 000000012838: D1000092 00A32529
	v_cmp_lt_u32_e64 s[40:41], v243, v42                       // 000000012840: D0C90028 000255F3
	v_add_u32_e32 v243, 64, v243                               // 000000012848: 69E7E6C0
	s_nop 0                                                    // 00000001284C: BF800000
	v_cndmask_b32_e64 v147, v41, v147, s[40:41]                // 000000012850: D1000093 00A32729
	v_cmp_lt_u32_e64 s[40:41], v240, v42                       // 000000012858: D0C90028 000255F0
	v_add_u32_e32 v240, 64, v240                               // 000000012860: 69E1E0C0
	s_nop 0                                                    // 000000012864: BF800000
	v_cndmask_b32_e64 v148, v41, v148, s[40:41]                // 000000012868: D1000094 00A32929
	v_cmp_lt_u32_e64 s[40:41], v241, v42                       // 000000012870: D0C90028 000255F1
	v_add_u32_e32 v241, 64, v241                               // 000000012878: 69E3E2C0
	s_nop 0                                                    // 00000001287C: BF800000
	v_cndmask_b32_e64 v149, v41, v149, s[40:41]                // 000000012880: D1000095 00A32B29
	v_cmp_lt_u32_e64 s[40:41], v242, v42                       // 000000012888: D0C90028 000255F2
	v_add_u32_e32 v242, 64, v242                               // 000000012890: 69E5E4C0
	s_nop 0                                                    // 000000012894: BF800000
	v_cndmask_b32_e64 v150, v41, v150, s[40:41]                // 000000012898: D1000096 00A32D29
	v_cmp_lt_u32_e64 s[40:41], v243, v42                       // 0000000128A0: D0C90028 000255F3
	v_add_u32_e32 v243, 64, v243                               // 0000000128A8: 69E7E6C0
	s_nop 0                                                    // 0000000128AC: BF800000
	v_cndmask_b32_e64 v151, v41, v151, s[40:41]                // 0000000128B0: D1000097 00A32F29
	v_cmp_lt_u32_e64 s[40:41], v240, v42                       // 0000000128B8: D0C90028 000255F0
	v_add_u32_e32 v240, 64, v240                               // 0000000128C0: 69E1E0C0
	s_nop 0                                                    // 0000000128C4: BF800000
	v_cndmask_b32_e64 v152, v41, v152, s[40:41]                // 0000000128C8: D1000098 00A33129
	v_cmp_lt_u32_e64 s[40:41], v241, v42                       // 0000000128D0: D0C90028 000255F1
	v_add_u32_e32 v241, 64, v241                               // 0000000128D8: 69E3E2C0
	s_nop 0                                                    // 0000000128DC: BF800000
	v_cndmask_b32_e64 v153, v41, v153, s[40:41]                // 0000000128E0: D1000099 00A33329
	v_cmp_lt_u32_e64 s[40:41], v242, v42                       // 0000000128E8: D0C90028 000255F2
	v_add_u32_e32 v242, 64, v242                               // 0000000128F0: 69E5E4C0
	s_nop 0                                                    // 0000000128F4: BF800000
	v_cndmask_b32_e64 v154, v41, v154, s[40:41]                // 0000000128F8: D100009A 00A33529
	v_cmp_lt_u32_e64 s[40:41], v243, v42                       // 000000012900: D0C90028 000255F3
	v_add_u32_e32 v243, 64, v243                               // 000000012908: 69E7E6C0
	s_nop 0                                                    // 00000001290C: BF800000
	v_cndmask_b32_e64 v155, v41, v155, s[40:41]                // 000000012910: D100009B 00A33729
	v_cmp_lt_u32_e64 s[40:41], v240, v42                       // 000000012918: D0C90028 000255F0
	v_add_u32_e32 v240, 64, v240                               // 000000012920: 69E1E0C0
	s_nop 0                                                    // 000000012924: BF800000
	v_cndmask_b32_e64 v156, v41, v156, s[40:41]                // 000000012928: D100009C 00A33929
	v_cmp_lt_u32_e64 s[40:41], v241, v42                       // 000000012930: D0C90028 000255F1
	v_add_u32_e32 v241, 64, v241                               // 000000012938: 69E3E2C0
	s_nop 0                                                    // 00000001293C: BF800000
	v_cndmask_b32_e64 v157, v41, v157, s[40:41]                // 000000012940: D100009D 00A33B29
	v_cmp_lt_u32_e64 s[40:41], v242, v42                       // 000000012948: D0C90028 000255F2
	v_add_u32_e32 v242, 64, v242                               // 000000012950: 69E5E4C0
	s_nop 0                                                    // 000000012954: BF800000
	v_cndmask_b32_e64 v158, v41, v158, s[40:41]                // 000000012958: D100009E 00A33D29
	v_cmp_lt_u32_e64 s[40:41], v243, v42                       // 000000012960: D0C90028 000255F3
	v_add_u32_e32 v243, 64, v243                               // 000000012968: 69E7E6C0
	s_nop 0                                                    // 00000001296C: BF800000
	v_cndmask_b32_e64 v159, v41, v159, s[40:41]                // 000000012970: D100009F 00A33F29
	v_mov_b32_e32 v62, v144                                    // 000000012978: 7E7C0390
	v_max3_f32 v62, v144, v145, v62                            // 00000001297C: D1D3003E 04FB2390
	v_max3_f32 v62, v146, v147, v62                            // 000000012984: D1D3003E 04FB2792
	v_max3_f32 v62, v148, v149, v62                            // 00000001298C: D1D3003E 04FB2B94
	v_max3_f32 v62, v150, v151, v62                            // 000000012994: D1D3003E 04FB2F96
	v_max3_f32 v62, v152, v153, v62                            // 00000001299C: D1D3003E 04FB3398
	v_max3_f32 v62, v154, v155, v62                            // 0000000129A4: D1D3003E 04FB379A
	v_max3_f32 v62, v156, v157, v62                            // 0000000129AC: D1D3003E 04FB3B9C
	v_max3_f32 v62, v158, v159, v62                            // 0000000129B4: D1D3003E 04FB3F9E
	ds_write_b32 v11, v62 offset:16896                         // 0000000129BC: D81A4200 00003E0B
	v_mul_f32_e32 v232, v64, v232                              // 0000000129C4: 0BD1D140
	v_mul_f32_e32 v233, v64, v233                              // 0000000129C8: 0BD3D340
	v_mul_f32_e32 v234, v64, v234                              // 0000000129CC: 0BD5D540
	v_mul_f32_e32 v235, v64, v235                              // 0000000129D0: 0BD7D740
	v_mul_f32_e32 v236, v64, v236                              // 0000000129D4: 0BD9D940
	v_mul_f32_e32 v237, v64, v237                              // 0000000129D8: 0BDBDB40
	v_mul_f32_e32 v238, v64, v238                              // 0000000129DC: 0BDDDD40
	v_mul_f32_e32 v239, v64, v239                              // 0000000129E0: 0BDFDF40
	s_waitcnt lgkmcnt(0)                                       // 0000000129E4: BF8CC07F
	s_barrier                                                  // 0000000129E8: BF8A0000
	ds_read_b32 v80, v10 offset:16896                          // 0000000129EC: D86C4200 5000000A
	ds_read_b32 v81, v10 offset:16960                          // 0000000129F4: D86C4240 5100000A
	ds_read_b32 v82, v10 offset:17024                          // 0000000129FC: D86C4280 5200000A
	ds_read_b32 v83, v10 offset:17088                          // 000000012A04: D86C42C0 5300000A
	ds_read_b32 v84, v10 offset:17152                          // 000000012A0C: D86C4300 5400000A
	ds_read_b32 v85, v10 offset:17216                          // 000000012A14: D86C4340 5500000A
	ds_read_b32 v86, v10 offset:17280                          // 000000012A1C: D86C4380 5600000A
	ds_read_b32 v87, v10 offset:17344                          // 000000012A24: D86C43C0 5700000A
	ds_read_b32 v88, v10 offset:17408                          // 000000012A2C: D86C4400 5800000A
	ds_read_b32 v89, v10 offset:17472                          // 000000012A34: D86C4440 5900000A
	ds_read_b32 v90, v10 offset:17536                          // 000000012A3C: D86C4480 5A00000A
	ds_read_b32 v91, v10 offset:17600                          // 000000012A44: D86C44C0 5B00000A
	ds_read_b32 v92, v10 offset:17664                          // 000000012A4C: D86C4500 5C00000A
	ds_read_b32 v93, v10 offset:17728                          // 000000012A54: D86C4540 5D00000A
	ds_read_b32 v94, v10 offset:17792                          // 000000012A5C: D86C4580 5E00000A
	ds_read_b32 v95, v10 offset:17856                          // 000000012A64: D86C45C0 5F00000A
	v_mul_f32_e32 v200, v59, v200                              // 000000012A6C: 0B91913B
	v_mul_f32_e32 v201, v59, v201                              // 000000012A70: 0B93933B
	v_mul_f32_e32 v202, v59, v202                              // 000000012A74: 0B95953B
	v_mul_f32_e32 v203, v59, v203                              // 000000012A78: 0B97973B
	v_mul_f32_e32 v204, v59, v204                              // 000000012A7C: 0B99993B
	v_mul_f32_e32 v205, v59, v205                              // 000000012A80: 0B9B9B3B
	v_mul_f32_e32 v206, v59, v206                              // 000000012A84: 0B9D9D3B
	v_mul_f32_e32 v207, v59, v207                              // 000000012A88: 0B9F9F3B
	s_waitcnt lgkmcnt(0)                                       // 000000012A8C: BF8CC07F
	v_max3_f32 v62, v80, v81, v62                              // 000000012A90: D1D3003E 04FAA350
	v_max3_f32 v62, v82, v83, v62                              // 000000012A98: D1D3003E 04FAA752
	v_max3_f32 v62, v84, v85, v62                              // 000000012AA0: D1D3003E 04FAAB54
	v_max3_f32 v62, v86, v87, v62                              // 000000012AA8: D1D3003E 04FAAF56
	v_max3_f32 v62, v88, v89, v62                              // 000000012AB0: D1D3003E 04FAB358
	v_max3_f32 v62, v90, v91, v62                              // 000000012AB8: D1D3003E 04FAB75A
	v_max3_f32 v62, v92, v93, v62                              // 000000012AC0: D1D3003E 04FABB5C
	v_max3_f32 v62, v94, v95, v62                              // 000000012AC8: D1D3003E 04FABF5E
	v_mov_b32_e32 v41, 0xff800000                              // 000000012AD0: 7E5202FF FF800000
	v_cmp_eq_u32_e64 s[40:41], v41, v15                        // 000000012AD8: D0CA0028 00021F29
	s_nop 1                                                    // 000000012AE0: BF800001
	v_max_f32_e32 v18, v62, v15                                // 000000012AE4: 16241F3E
	v_mul_f32_e32 v67, s64, v18                                // 000000012AE8: 0A862440
	v_fma_f32 v144, v144, s64, -v67                            // 000000012AEC: D1CB0090 850C8190
	v_fma_f32 v145, v145, s64, -v67                            // 000000012AF4: D1CB0091 850C8191
	v_fma_f32 v146, v146, s64, -v67                            // 000000012AFC: D1CB0092 850C8192
	v_fma_f32 v147, v147, s64, -v67                            // 000000012B04: D1CB0093 850C8193
	v_fma_f32 v148, v148, s64, -v67                            // 000000012B0C: D1CB0094 850C8194
	v_fma_f32 v149, v149, s64, -v67                            // 000000012B14: D1CB0095 850C8195
	v_fma_f32 v150, v150, s64, -v67                            // 000000012B1C: D1CB0096 850C8196
	v_fma_f32 v151, v151, s64, -v67                            // 000000012B24: D1CB0097 850C8197
	v_fma_f32 v152, v152, s64, -v67                            // 000000012B2C: D1CB0098 850C8198
	v_fma_f32 v153, v153, s64, -v67                            // 000000012B34: D1CB0099 850C8199
	v_fma_f32 v154, v154, s64, -v67                            // 000000012B3C: D1CB009A 850C819A
	v_fma_f32 v155, v155, s64, -v67                            // 000000012B44: D1CB009B 850C819B
	v_fma_f32 v156, v156, s64, -v67                            // 000000012B4C: D1CB009C 850C819C
	v_fma_f32 v157, v157, s64, -v67                            // 000000012B54: D1CB009D 850C819D
	v_fma_f32 v158, v158, s64, -v67                            // 000000012B5C: D1CB009E 850C819E
	v_fma_f32 v159, v159, s64, -v67                            // 000000012B64: D1CB009F 850C819F
	v_exp_f32_e32 v144, v144                                   // 000000012B6C: 7F204190
	v_exp_f32_e32 v145, v145                                   // 000000012B70: 7F224191
	v_exp_f32_e32 v146, v146                                   // 000000012B74: 7F244192
	v_exp_f32_e32 v147, v147                                   // 000000012B78: 7F264193
	v_exp_f32_e32 v148, v148                                   // 000000012B7C: 7F284194
	v_exp_f32_e32 v149, v149                                   // 000000012B80: 7F2A4195
	v_exp_f32_e32 v150, v150                                   // 000000012B84: 7F2C4196
	v_exp_f32_e32 v151, v151                                   // 000000012B88: 7F2E4197
	v_exp_f32_e32 v152, v152                                   // 000000012B8C: 7F304198
	v_exp_f32_e32 v153, v153                                   // 000000012B90: 7F324199
	v_exp_f32_e32 v154, v154                                   // 000000012B94: 7F34419A
	v_exp_f32_e32 v155, v155                                   // 000000012B98: 7F36419B
	v_exp_f32_e32 v156, v156                                   // 000000012B9C: 7F38419C
	v_exp_f32_e32 v157, v157                                   // 000000012BA0: 7F3A419D
	v_exp_f32_e32 v158, v158                                   // 000000012BA4: 7F3C419E
	v_exp_f32_e32 v159, v159                                   // 000000012BA8: 7F3E419F
	v_mul_f32_dpp v240, v252, v144 quad_perm:[0,0,0,0] row_mask:0xf bank_mask:0xf// 000000012BAC: 0BE120FA FF0000FC
	v_mul_f32_dpp v241, v252, v145 quad_perm:[1,1,1,1] row_mask:0xf bank_mask:0xf// 000000012BB4: 0BE322FA FF0055FC
	v_mul_f32_dpp v242, v252, v146 quad_perm:[2,2,2,2] row_mask:0xf bank_mask:0xf// 000000012BBC: 0BE524FA FF00AAFC
	v_mul_f32_dpp v243, v252, v147 quad_perm:[3,3,3,3] row_mask:0xf bank_mask:0xf// 000000012BC4: 0BE726FA FF00FFFC
	v_mul_f32_dpp v244, v253, v148 quad_perm:[0,0,0,0] row_mask:0xf bank_mask:0xf// 000000012BCC: 0BE928FA FF0000FD
	v_mul_f32_dpp v245, v253, v149 quad_perm:[1,1,1,1] row_mask:0xf bank_mask:0xf// 000000012BD4: 0BEB2AFA FF0055FD
	v_mul_f32_dpp v246, v253, v150 quad_perm:[2,2,2,2] row_mask:0xf bank_mask:0xf// 000000012BDC: 0BED2CFA FF00AAFD
	v_mul_f32_dpp v247, v253, v151 quad_perm:[3,3,3,3] row_mask:0xf bank_mask:0xf// 000000012BE4: 0BEF2EFA FF00FFFD
	v_mul_f32_dpp v248, v254, v152 quad_perm:[0,0,0,0] row_mask:0xf bank_mask:0xf// 000000012BEC: 0BF130FA FF0000FE
	v_mul_f32_dpp v249, v254, v153 quad_perm:[1,1,1,1] row_mask:0xf bank_mask:0xf// 000000012BF4: 0BF332FA FF0055FE
	v_mul_f32_dpp v250, v254, v154 quad_perm:[2,2,2,2] row_mask:0xf bank_mask:0xf// 000000012BFC: 0BF534FA FF00AAFE
	v_mul_f32_dpp v251, v254, v155 quad_perm:[3,3,3,3] row_mask:0xf bank_mask:0xf// 000000012C04: 0BF736FA FF00FFFE
	v_mul_f32_dpp v252, v255, v156 quad_perm:[0,0,0,0] row_mask:0xf bank_mask:0xf// 000000012C0C: 0BF938FA FF0000FF
	v_mul_f32_dpp v253, v255, v157 quad_perm:[1,1,1,1] row_mask:0xf bank_mask:0xf// 000000012C14: 0BFB3AFA FF0055FF
	v_mul_f32_dpp v254, v255, v158 quad_perm:[2,2,2,2] row_mask:0xf bank_mask:0xf// 000000012C1C: 0BFD3CFA FF00AAFF
	v_mul_f32_dpp v255, v255, v159 quad_perm:[3,3,3,3] row_mask:0xf bank_mask:0xf// 000000012C24: 0BFF3EFA FF00FFFF
	v_mov_b32_e32 v62, 0x358637bd                              // 000000012C2C: 7E7C02FF 358637BD
	v_max3_f32 v62, |v240|, |v241|, v62                        // 000000012C34: D1D3033E 04FBE3F0
	v_max3_f32 v62, |v242|, |v243|, v62                        // 000000012C3C: D1D3033E 04FBE7F2
	v_max3_f32 v62, |v244|, |v245|, v62                        // 000000012C44: D1D3033E 04FBEBF4
	v_max3_f32 v62, |v246|, |v247|, v62                        // 000000012C4C: D1D3033E 04FBEFF6
	v_max3_f32 v62, |v248|, |v249|, v62                        // 000000012C54: D1D3033E 04FBF3F8
	v_max3_f32 v62, |v250|, |v251|, v62                        // 000000012C5C: D1D3033E 04FBF7FA
	v_max3_f32 v62, |v252|, |v253|, v62                        // 000000012C64: D1D3033E 04FBFBFC
	v_max3_f32 v62, |v254|, |v255|, v62                        // 000000012C6C: D1D3033E 04FBFFFE
	ds_write_b32 v11, v62 offset:20992                         // 000000012C74: D81A5200 00003E0B
	v_sub_f32_e32 v64, v15, v18                                // 000000012C7C: 0480250F
	v_cndmask_b32_e64 v64, v64, 0, s[40:41]                    // 000000012C80: D1000040 00A10140
	v_mov_b32_e32 v15, v18                                     // 000000012C88: 7E1E0312
	v_mul_f32_e32 v64, s64, v64                                // 000000012C8C: 0A808040
	v_exp_f32_e32 v64, v64                                     // 000000012C90: 7E804140
	s_waitcnt lgkmcnt(0)                                       // 000000012C94: BF8CC07F
	s_barrier                                                  // 000000012C98: BF8A0000
	ds_read_b32 v80, v10 offset:20992                          // 000000012C9C: D86C5200 5000000A
	ds_read_b32 v81, v10 offset:21056                          // 000000012CA4: D86C5240 5100000A
	ds_read_b32 v82, v10 offset:21120                          // 000000012CAC: D86C5280 5200000A
	ds_read_b32 v83, v10 offset:21184                          // 000000012CB4: D86C52C0 5300000A
	ds_read_b32 v84, v10 offset:21248                          // 000000012CBC: D86C5300 5400000A
	ds_read_b32 v85, v10 offset:21312                          // 000000012CC4: D86C5340 5500000A
	ds_read_b32 v86, v10 offset:21376                          // 000000012CCC: D86C5380 5600000A
	ds_read_b32 v87, v10 offset:21440                          // 000000012CD4: D86C53C0 5700000A
	ds_read_b32 v88, v10 offset:21504                          // 000000012CDC: D86C5400 5800000A
	ds_read_b32 v89, v10 offset:21568                          // 000000012CE4: D86C5440 5900000A
	ds_read_b32 v90, v10 offset:21632                          // 000000012CEC: D86C5480 5A00000A
	ds_read_b32 v91, v10 offset:21696                          // 000000012CF4: D86C54C0 5B00000A
	ds_read_b32 v92, v10 offset:21760                          // 000000012CFC: D86C5500 5C00000A
	ds_read_b32 v93, v10 offset:21824                          // 000000012D04: D86C5540 5D00000A
	ds_read_b32 v94, v10 offset:21888                          // 000000012D0C: D86C5580 5E00000A
	ds_read_b32 v95, v10 offset:21952                          // 000000012D14: D86C55C0 5F00000A
	v_mul_f32_e32 v48, v64, v48                                // 000000012D1C: 0A606140
	v_mov_b32_e32 v18, v144                                    // 000000012D20: 7E240390
	v_add_f32_e32 v18, v145, v18                               // 000000012D24: 02242591
	v_add_f32_e32 v18, v146, v18                               // 000000012D28: 02242592
	v_add_f32_e32 v18, v147, v18                               // 000000012D2C: 02242593
	v_add_f32_e32 v18, v148, v18                               // 000000012D30: 02242594
	v_add_f32_e32 v18, v149, v18                               // 000000012D34: 02242595
	v_add_f32_e32 v18, v150, v18                               // 000000012D38: 02242596
	v_add_f32_e32 v18, v151, v18                               // 000000012D3C: 02242597
	v_add_f32_e32 v18, v152, v18                               // 000000012D40: 02242598
	v_add_f32_e32 v18, v153, v18                               // 000000012D44: 02242599
	v_add_f32_e32 v18, v154, v18                               // 000000012D48: 0224259A
	v_add_f32_e32 v18, v155, v18                               // 000000012D4C: 0224259B
	v_add_f32_e32 v18, v156, v18                               // 000000012D50: 0224259C
	v_add_f32_e32 v18, v157, v18                               // 000000012D54: 0224259D
	v_add_f32_e32 v18, v158, v18                               // 000000012D58: 0224259E
	v_add_f32_e32 v18, v159, v18                               // 000000012D5C: 0224259F
	v_add_f32_e32 v48, v18, v48                                // 000000012D60: 02606112
	s_waitcnt lgkmcnt(0)                                       // 000000012D64: BF8CC07F
	v_max3_f32 v62, |v80|, |v81|, v62                          // 000000012D68: D1D3033E 04FAA350
	v_max3_f32 v62, |v82|, |v83|, v62                          // 000000012D70: D1D3033E 04FAA752
	v_max3_f32 v62, |v84|, |v85|, v62                          // 000000012D78: D1D3033E 04FAAB54
	v_max3_f32 v62, |v86|, |v87|, v62                          // 000000012D80: D1D3033E 04FAAF56
	v_max3_f32 v62, |v88|, |v89|, v62                          // 000000012D88: D1D3033E 04FAB358
	v_max3_f32 v62, |v90|, |v91|, v62                          // 000000012D90: D1D3033E 04FAB75A
	v_max3_f32 v62, |v92|, |v93|, v62                          // 000000012D98: D1D3033E 04FABB5C
	v_max3_f32 v62, |v94|, |v95|, v62                          // 000000012DA0: D1D3033E 04FABF5E
	s_nop 2                                                    // 000000012DA8: BF800002
	v_rcp_f32_e32 v62, v62                                     // 000000012DAC: 7E7C453E
	s_nop 1                                                    // 000000012DB0: BF800001
	v_mul_f32_e32 v62, 0x43e00000, v62                         // 000000012DB4: 0A7C7CFF 43E00000
	v_mul_f32_e32 v144, v62, v240                              // 000000012DBC: 0B21E13E
	v_mul_f32_e32 v145, v62, v241                              // 000000012DC0: 0B23E33E
	v_mul_f32_e32 v146, v62, v242                              // 000000012DC4: 0B25E53E
	v_mul_f32_e32 v147, v62, v243                              // 000000012DC8: 0B27E73E
	v_mul_f32_e32 v148, v62, v244                              // 000000012DCC: 0B29E93E
	v_mul_f32_e32 v149, v62, v245                              // 000000012DD0: 0B2BEB3E
	v_mul_f32_e32 v150, v62, v246                              // 000000012DD4: 0B2DED3E
	v_mul_f32_e32 v151, v62, v247                              // 000000012DD8: 0B2FEF3E
	v_mul_f32_e32 v152, v62, v248                              // 000000012DDC: 0B31F13E
	v_mul_f32_e32 v153, v62, v249                              // 000000012DE0: 0B33F33E
	v_mul_f32_e32 v154, v62, v250                              // 000000012DE4: 0B35F53E
	v_mul_f32_e32 v155, v62, v251                              // 000000012DE8: 0B37F73E
	v_mul_f32_e32 v156, v62, v252                              // 000000012DEC: 0B39F93E
	v_mul_f32_e32 v157, v62, v253                              // 000000012DF0: 0B3BFB3E
	v_mul_f32_e32 v158, v62, v254                              // 000000012DF4: 0B3DFD3E
	v_mul_f32_e32 v159, v62, v255                              // 000000012DF8: 0B3FFF3E
	v_cvt_pk_fp8_f32 v144, v144, v145                          // 000000012DFC: D2A20090 00032390
	v_cvt_pk_fp8_f32 v144, v146, v147 op_sel:[0,0,1]           // 000000012E04: D2A24090 00032792
	v_cvt_pk_fp8_f32 v145, v148, v149                          // 000000012E0C: D2A20091 00032B94
	v_cvt_pk_fp8_f32 v145, v150, v151 op_sel:[0,0,1]           // 000000012E14: D2A24091 00032F96
	v_cvt_pk_fp8_f32 v146, v152, v153                          // 000000012E1C: D2A20092 00033398
	v_cvt_pk_fp8_f32 v146, v154, v155 op_sel:[0,0,1]           // 000000012E24: D2A24092 0003379A
	v_cvt_pk_fp8_f32 v147, v156, v157                          // 000000012E2C: D2A20093 00033B9C
	v_cvt_pk_fp8_f32 v147, v158, v159 op_sel:[0,0,1]           // 000000012E34: D2A24093 00033F9E
	ds_write_b32 v13, v144 offset:29184                        // 000000012E3C: D81A7200 0000900D
	ds_write_b32 v13, v145 offset:30208                        // 000000012E44: D81A7600 0000910D
	ds_write_b32 v13, v146 offset:31232                        // 000000012E4C: D81A7A00 0000920D
	ds_write_b32 v13, v147 offset:32256                        // 000000012E54: D81A7E00 0000930D
	v_add_f32_e32 v232, v232, v200                             // 000000012E5C: 03D191E8
	v_add_f32_e32 v233, v233, v201                             // 000000012E60: 03D393E9
	v_add_f32_e32 v234, v234, v202                             // 000000012E64: 03D595EA
	v_add_f32_e32 v235, v235, v203                             // 000000012E68: 03D797EB
	v_add_f32_e32 v236, v236, v204                             // 000000012E6C: 03D999EC
	v_add_f32_e32 v237, v237, v205                             // 000000012E70: 03DB9BED
	v_add_f32_e32 v238, v238, v206                             // 000000012E74: 03DD9DEE
	v_add_f32_e32 v239, v239, v207                             // 000000012E78: 03DF9FEF
	v_rcp_f32_e32 v59, v62                                     // 000000012E7C: 7E76453E
	s_waitcnt lgkmcnt(0)                                       // 000000012E80: BF8CC07F
	s_barrier                                                  // 000000012E84: BF8A0000
	ds_read_b64 v[144:145], v12 offset:29184                   // 000000012E88: D8EC7200 9000000C
	ds_read_b64 v[146:147], v12 offset:29312                   // 000000012E90: D8EC7280 9200000C
	ds_read_b64 v[148:149], v12 offset:30208                   // 000000012E98: D8EC7600 9400000C
	ds_read_b64 v[150:151], v12 offset:30336                   // 000000012EA0: D8EC7680 9600000C
	ds_read_b64 v[152:153], v12 offset:31232                   // 000000012EA8: D8EC7A00 9800000C
	ds_read_b64 v[154:155], v12 offset:31360                   // 000000012EB0: D8EC7A80 9A00000C
	ds_read_b64 v[156:157], v12 offset:32256                   // 000000012EB8: D8EC7E00 9C00000C
	ds_read_b64 v[158:159], v12 offset:32384                   // 000000012EC0: D8EC7E80 9E00000C
	s_waitcnt vmcnt(0)                                         // 000000012EC8: BF8C0F70
	s_barrier                                                  // 000000012ECC: BF8A0000
	v_mfma_f32_16x16x32_fp8_fp8 v[192:195], a[96:97], v[128:129], 0// 000000012ED0: D3F300C0 0A030160
	v_mfma_f32_16x16x32_fp8_fp8 v[192:195], a[98:99], v[130:131], v[192:195]// 000000012ED8: D3F300C0 0F030562
	v_mfma_f32_16x16x32_fp8_fp8 v[192:195], a[100:101], v[132:133], v[192:195]// 000000012EE0: D3F300C0 0F030964
	v_mfma_f32_16x16x32_fp8_fp8 v[192:195], a[102:103], v[134:135], v[192:195]// 000000012EE8: D3F300C0 0F030D66
	v_mfma_f32_16x16x32_fp8_fp8 v[192:195], a[104:105], v[136:137], v[192:195]// 000000012EF0: D3F300C0 0F031168
	v_mfma_f32_16x16x32_fp8_fp8 v[192:195], a[106:107], v[138:139], v[192:195]// 000000012EF8: D3F300C0 0F03156A
	v_mfma_f32_16x16x32_fp8_fp8 v[192:195], a[108:109], v[140:141], v[192:195]// 000000012F00: D3F300C0 0F03196C
	v_mfma_f32_16x16x32_fp8_fp8 v[192:195], a[110:111], v[142:143], v[192:195]// 000000012F08: D3F300C0 0F031D6E
	v_mfma_f32_16x16x32_fp8_fp8 v[196:199], a[112:113], v[128:129], 0// 000000012F10: D3F300C4 0A030170
	v_mfma_f32_16x16x32_fp8_fp8 v[196:199], a[114:115], v[130:131], v[196:199]// 000000012F18: D3F300C4 0F130572
	v_mfma_f32_16x16x32_fp8_fp8 v[196:199], a[116:117], v[132:133], v[196:199]// 000000012F20: D3F300C4 0F130974
	v_mfma_f32_16x16x32_fp8_fp8 v[196:199], a[118:119], v[134:135], v[196:199]// 000000012F28: D3F300C4 0F130D76
	v_mfma_f32_16x16x32_fp8_fp8 v[196:199], a[120:121], v[136:137], v[196:199]// 000000012F30: D3F300C4 0F131178
	v_mfma_f32_16x16x32_fp8_fp8 v[196:199], a[122:123], v[138:139], v[196:199]// 000000012F38: D3F300C4 0F13157A
	v_mfma_f32_16x16x32_fp8_fp8 v[196:199], a[124:125], v[140:141], v[196:199]// 000000012F40: D3F300C4 0F13197C
	v_mfma_f32_16x16x32_fp8_fp8 v[196:199], a[126:127], v[142:143], v[196:199]// 000000012F48: D3F300C4 0F131D7E
	v_mfma_f32_16x16x32_fp8_fp8 v[200:203], a[96:97], v[144:145], 0// 000000012F50: D3F300C8 0A032160
	v_mfma_f32_16x16x32_fp8_fp8 v[200:203], a[98:99], v[146:147], v[200:203]// 000000012F58: D3F300C8 0F232562
	v_mfma_f32_16x16x32_fp8_fp8 v[200:203], a[100:101], v[148:149], v[200:203]// 000000012F60: D3F300C8 0F232964
	v_mfma_f32_16x16x32_fp8_fp8 v[200:203], a[102:103], v[150:151], v[200:203]// 000000012F68: D3F300C8 0F232D66
	v_mfma_f32_16x16x32_fp8_fp8 v[200:203], a[104:105], v[152:153], v[200:203]// 000000012F70: D3F300C8 0F233168
	v_mfma_f32_16x16x32_fp8_fp8 v[200:203], a[106:107], v[154:155], v[200:203]// 000000012F78: D3F300C8 0F23356A
	v_mfma_f32_16x16x32_fp8_fp8 v[200:203], a[108:109], v[156:157], v[200:203]// 000000012F80: D3F300C8 0F23396C
	v_mfma_f32_16x16x32_fp8_fp8 v[200:203], a[110:111], v[158:159], v[200:203]// 000000012F88: D3F300C8 0F233D6E
	v_mfma_f32_16x16x32_fp8_fp8 v[204:207], a[112:113], v[144:145], 0// 000000012F90: D3F300CC 0A032170
	v_mfma_f32_16x16x32_fp8_fp8 v[204:207], a[114:115], v[146:147], v[204:207]// 000000012F98: D3F300CC 0F332572
	v_mfma_f32_16x16x32_fp8_fp8 v[204:207], a[116:117], v[148:149], v[204:207]// 000000012FA0: D3F300CC 0F332974
	v_mfma_f32_16x16x32_fp8_fp8 v[204:207], a[118:119], v[150:151], v[204:207]// 000000012FA8: D3F300CC 0F332D76
	v_mfma_f32_16x16x32_fp8_fp8 v[204:207], a[120:121], v[152:153], v[204:207]// 000000012FB0: D3F300CC 0F333178
	v_mfma_f32_16x16x32_fp8_fp8 v[204:207], a[122:123], v[154:155], v[204:207]// 000000012FB8: D3F300CC 0F33357A
	v_mfma_f32_16x16x32_fp8_fp8 v[204:207], a[124:125], v[156:157], v[204:207]// 000000012FC0: D3F300CC 0F33397C
	v_mfma_f32_16x16x32_fp8_fp8 v[204:207], a[126:127], v[158:159], v[204:207]// 000000012FC8: D3F300CC 0F333D7E
	s_nop 4                                                    // 000000012FD0: BF800004
	s_branch label_4376                                        // 000000012FD4: BF820000

0000000000012fd8 <label_4376>:
	s_mov_b32 s60, 0xa0                                        // 000000012FD8: BEBC00FF 000000A0
	s_cmp_eq_i32 s88, s60                                      // 000000012FE0: BF003C58
	s_cbranch_scc1 label_44FF                                  // 000000012FE4: BF850185
	v_mul_f32_e32 v224, v63, v224                              // 000000012FE8: 0BC1C13F
	v_mul_f32_e32 v225, v63, v225                              // 000000012FEC: 0BC3C33F
	v_mul_f32_e32 v226, v63, v226                              // 000000012FF0: 0BC5C53F
	v_mul_f32_e32 v227, v63, v227                              // 000000012FF4: 0BC7C73F
	v_mul_f32_e32 v228, v63, v228                              // 000000012FF8: 0BC9C93F
	v_mul_f32_e32 v229, v63, v229                              // 000000012FFC: 0BCBCB3F
	v_mul_f32_e32 v230, v63, v230                              // 000000013000: 0BCDCD3F
	v_mul_f32_e32 v231, v63, v231                              // 000000013004: 0BCFCF3F
	v_mul_f32_e32 v192, v58, v192                              // 000000013008: 0B81813A
	v_mul_f32_e32 v193, v58, v193                              // 00000001300C: 0B83833A
	v_mul_f32_e32 v194, v58, v194                              // 000000013010: 0B85853A
	v_mul_f32_e32 v195, v58, v195                              // 000000013014: 0B87873A
	v_mul_f32_e32 v196, v58, v196                              // 000000013018: 0B89893A
	v_mul_f32_e32 v197, v58, v197                              // 00000001301C: 0B8B8B3A
	v_mul_f32_e32 v198, v58, v198                              // 000000013020: 0B8D8D3A
	v_mul_f32_e32 v199, v58, v199                              // 000000013024: 0B8F8F3A
	v_add_f32_e32 v224, v224, v192                             // 000000013028: 03C181E0
	v_add_f32_e32 v225, v225, v193                             // 00000001302C: 03C383E1
	v_add_f32_e32 v226, v226, v194                             // 000000013030: 03C585E2
	v_add_f32_e32 v227, v227, v195                             // 000000013034: 03C787E3
	v_add_f32_e32 v228, v228, v196                             // 000000013038: 03C989E4
	v_add_f32_e32 v229, v229, v197                             // 00000001303C: 03CB8BE5
	v_add_f32_e32 v230, v230, v198                             // 000000013040: 03CD8DE6
	v_add_f32_e32 v231, v231, v199                             // 000000013044: 03CF8FE7
	ds_write_b32 v11, v47 offset:16896                         // 000000013048: D81A4200 00002F0B
	s_waitcnt lgkmcnt(0)                                       // 000000013050: BF8CC07F
	s_barrier                                                  // 000000013054: BF8A0000
	ds_read_b32 v80, v10 offset:16896                          // 000000013058: D86C4200 5000000A
	ds_read_b32 v81, v10 offset:16960                          // 000000013060: D86C4240 5100000A
	ds_read_b32 v82, v10 offset:17024                          // 000000013068: D86C4280 5200000A
	ds_read_b32 v83, v10 offset:17088                          // 000000013070: D86C42C0 5300000A
	ds_read_b32 v84, v10 offset:17152                          // 000000013078: D86C4300 5400000A
	ds_read_b32 v85, v10 offset:17216                          // 000000013080: D86C4340 5500000A
	ds_read_b32 v86, v10 offset:17280                          // 000000013088: D86C4380 5600000A
	ds_read_b32 v87, v10 offset:17344                          // 000000013090: D86C43C0 5700000A
	ds_read_b32 v88, v10 offset:17408                          // 000000013098: D86C4400 5800000A
	ds_read_b32 v89, v10 offset:17472                          // 0000000130A0: D86C4440 5900000A
	ds_read_b32 v90, v10 offset:17536                          // 0000000130A8: D86C4480 5A00000A
	ds_read_b32 v91, v10 offset:17600                          // 0000000130B0: D86C44C0 5B00000A
	ds_read_b32 v92, v10 offset:17664                          // 0000000130B8: D86C4500 5C00000A
	ds_read_b32 v93, v10 offset:17728                          // 0000000130C0: D86C4540 5D00000A
	ds_read_b32 v94, v10 offset:17792                          // 0000000130C8: D86C4580 5E00000A
	ds_read_b32 v95, v10 offset:17856                          // 0000000130D0: D86C45C0 5F00000A
	s_waitcnt lgkmcnt(0)                                       // 0000000130D8: BF8CC07F
	v_mov_b32_e32 v47, 0                                       // 0000000130DC: 7E5E0280
	v_add_f32_e32 v47, v80, v47                                // 0000000130E0: 025E5F50
	v_add_f32_e32 v47, v81, v47                                // 0000000130E4: 025E5F51
	v_add_f32_e32 v47, v82, v47                                // 0000000130E8: 025E5F52
	v_add_f32_e32 v47, v83, v47                                // 0000000130EC: 025E5F53
	v_add_f32_e32 v47, v84, v47                                // 0000000130F0: 025E5F54
	v_add_f32_e32 v47, v85, v47                                // 0000000130F4: 025E5F55
	v_add_f32_e32 v47, v86, v47                                // 0000000130F8: 025E5F56
	v_add_f32_e32 v47, v87, v47                                // 0000000130FC: 025E5F57
	v_add_f32_e32 v47, v88, v47                                // 000000013100: 025E5F58
	v_add_f32_e32 v47, v89, v47                                // 000000013104: 025E5F59
	v_add_f32_e32 v47, v90, v47                                // 000000013108: 025E5F5A
	v_add_f32_e32 v47, v91, v47                                // 00000001310C: 025E5F5B
	v_add_f32_e32 v47, v92, v47                                // 000000013110: 025E5F5C
	v_add_f32_e32 v47, v93, v47                                // 000000013114: 025E5F5D
	v_add_f32_e32 v47, v94, v47                                // 000000013118: 025E5F5E
	v_add_f32_e32 v47, v95, v47                                // 00000001311C: 025E5F5F
	s_nop 1                                                    // 000000013120: BF800001
	v_rcp_f32_e32 v47, v47                                     // 000000013124: 7E5E452F
	s_nop 1                                                    // 000000013128: BF800001
	v_mul_f32_e32 v224, v47, v224                              // 00000001312C: 0BC1C12F
	v_mul_f32_e32 v225, v47, v225                              // 000000013130: 0BC3C32F
	v_mul_f32_e32 v226, v47, v226                              // 000000013134: 0BC5C52F
	v_mul_f32_e32 v227, v47, v227                              // 000000013138: 0BC7C72F
	v_mul_f32_e32 v228, v47, v228                              // 00000001313C: 0BC9C92F
	v_mul_f32_e32 v229, v47, v229                              // 000000013140: 0BCBCB2F
	v_mul_f32_e32 v230, v47, v230                              // 000000013144: 0BCDCD2F
	v_mul_f32_e32 v231, v47, v231                              // 000000013148: 0BCFCF2F
	v_cmp_u_f32_e64 s[40:41], v224, v224                       // 00000001314C: D0480028 0003C1E0
	v_add3_u32 v21, v224, v24, 1                               // 000000013154: D1FF0015 020631E0
	v_cndmask_b32_e64 v41, v21, v23, s[40:41]                  // 00000001315C: D1000029 00A22F15
	v_cmp_u_f32_e64 s[40:41], v225, v225                       // 000000013164: D0480028 0003C3E1
	v_add3_u32 v21, v225, v24, 1                               // 00000001316C: D1FF0015 020631E1
	v_cndmask_b32_e64 v42, v21, v23, s[40:41]                  // 000000013174: D100002A 00A22F15
	v_perm_b32 v224, v42, v41, s52                             // 00000001317C: D1ED00E0 00D2532A
	v_cmp_u_f32_e64 s[40:41], v226, v226                       // 000000013184: D0480028 0003C5E2
	v_add3_u32 v21, v226, v24, 1                               // 00000001318C: D1FF0015 020631E2
	v_cndmask_b32_e64 v41, v21, v23, s[40:41]                  // 000000013194: D1000029 00A22F15
	v_cmp_u_f32_e64 s[40:41], v227, v227                       // 00000001319C: D0480028 0003C7E3
	v_add3_u32 v21, v227, v24, 1                               // 0000000131A4: D1FF0015 020631E3
	v_cndmask_b32_e64 v42, v21, v23, s[40:41]                  // 0000000131AC: D100002A 00A22F15
	v_perm_b32 v225, v42, v41, s52                             // 0000000131B4: D1ED00E1 00D2532A
	v_cmp_u_f32_e64 s[40:41], v228, v228                       // 0000000131BC: D0480028 0003C9E4
	v_add3_u32 v21, v228, v24, 1                               // 0000000131C4: D1FF0015 020631E4
	v_cndmask_b32_e64 v41, v21, v23, s[40:41]                  // 0000000131CC: D1000029 00A22F15
	v_cmp_u_f32_e64 s[40:41], v229, v229                       // 0000000131D4: D0480028 0003CBE5
	v_add3_u32 v21, v229, v24, 1                               // 0000000131DC: D1FF0015 020631E5
	v_cndmask_b32_e64 v42, v21, v23, s[40:41]                  // 0000000131E4: D100002A 00A22F15
	v_perm_b32 v226, v42, v41, s52                             // 0000000131EC: D1ED00E2 00D2532A
	v_cmp_u_f32_e64 s[40:41], v230, v230                       // 0000000131F4: D0480028 0003CDE6
	v_add3_u32 v21, v230, v24, 1                               // 0000000131FC: D1FF0015 020631E6
	v_cndmask_b32_e64 v41, v21, v23, s[40:41]                  // 000000013204: D1000029 00A22F15
	v_cmp_u_f32_e64 s[40:41], v231, v231                       // 00000001320C: D0480028 0003CFE7
	v_add3_u32 v21, v231, v24, 1                               // 000000013214: D1FF0015 020631E7
	v_cndmask_b32_e64 v42, v21, v23, s[40:41]                  // 00000001321C: D100002A 00A22F15
	v_perm_b32 v227, v42, v41, s52                             // 000000013224: D1ED00E3 00D2532A
	s_nop 1                                                    // 00000001322C: BF800001
	v_lshrrev_b32_e32 v41, 4, v0                               // 000000013230: 20520084
	v_mul_i32_i24_e32 v45, 34, v41                             // 000000013234: 0C5A52A2
	v_and_b32_e32 v41, 15, v0                                  // 000000013238: 2652008F
	v_mul_i32_i24_e32 v42, 2, v41                              // 00000001323C: 0C545282
	v_add_u32_e32 v45, v42, v45                                // 000000013240: 685A5B2A
	s_mul_i32 s60, s7, 0x88                                    // 000000013244: 923CFF07 00000088
	v_add_u32_e32 v45, s60, v45                                // 00000001324C: 685A5A3C
	v_lshlrev_b32_e32 v45, 2, v45                              // 000000013250: 245A5A82
	ds_write_b64 v45, v[224:225] offset:41472                  // 000000013254: D89AA200 0000E02D
	ds_write_b64 v45, v[226:227] offset:43648                  // 00000001325C: D89AAA80 0000E22D
	v_lshrrev_b32_e32 v41, 1, v0                               // 000000013264: 20520081
	v_mul_i32_i24_e32 v45, 34, v41                             // 000000013268: 0C5A52A2
	v_and_b32_e32 v42, 1, v0                                   // 00000001326C: 26540081
	v_add_u32_e32 v45, v42, v45                                // 000000013270: 685A5B2A
	s_mul_i32 s60, s7, 2                                       // 000000013274: 923C8207
	v_add_u32_e32 v45, s60, v45                                // 000000013278: 685A5A3C
	v_lshlrev_b32_e32 v45, 2, v45                              // 00000001327C: 245A5A82
	s_waitcnt lgkmcnt(0)                                       // 000000013280: BF8CC07F
	s_barrier                                                  // 000000013284: BF8A0000
	ds_read_b32 v224, v45 offset:41472                         // 000000013288: D86CA200 E000002D
	ds_read_b32 v225, v45 offset:41504                         // 000000013290: D86CA220 E100002D
	ds_read_b32 v226, v45 offset:41536                         // 000000013298: D86CA240 E200002D
	ds_read_b32 v227, v45 offset:41568                         // 0000000132A0: D86CA260 E300002D
	s_mul_i32 s60, s7, 0x100                                   // 0000000132A8: 923CFF07 00000100
	v_lshlrev_b32_e32 v41, 2, v0                               // 0000000132B0: 24520082
	v_add_u32_e64 v41, v41, s60                                // 0000000132B4: D1340029 00007929
	s_waitcnt lgkmcnt(0)                                       // 0000000132BC: BF8CC07F
	buffer_store_dword v224, v41, s[8:11], 0 offen             // 0000000132C0: E0701000 8002E029
	buffer_store_dword v225, v41, s[8:11], 0 offen offset:1024 // 0000000132C8: E0701400 8002E129
	s_add_u32 s8, s75, s8                                      // 0000000132D0: 8008084B
	s_addc_u32 s9, 0, s9                                       // 0000000132D4: 82090980
	buffer_store_dword v226, v41, s[8:11], 0 offen             // 0000000132D8: E0701000 8002E229
	buffer_store_dword v227, v41, s[8:11], 0 offen offset:1024 // 0000000132E0: E0701400 8002E329
	s_add_u32 s8, s75, s8                                      // 0000000132E8: 8008084B
	s_addc_u32 s9, 0, s9                                       // 0000000132EC: 82090980
	v_mul_f32_e32 v232, v64, v232                              // 0000000132F0: 0BD1D140
	v_mul_f32_e32 v233, v64, v233                              // 0000000132F4: 0BD3D340
	v_mul_f32_e32 v234, v64, v234                              // 0000000132F8: 0BD5D540
	v_mul_f32_e32 v235, v64, v235                              // 0000000132FC: 0BD7D740
	v_mul_f32_e32 v236, v64, v236                              // 000000013300: 0BD9D940
	v_mul_f32_e32 v237, v64, v237                              // 000000013304: 0BDBDB40
	v_mul_f32_e32 v238, v64, v238                              // 000000013308: 0BDDDD40
	v_mul_f32_e32 v239, v64, v239                              // 00000001330C: 0BDFDF40
	v_mul_f32_e32 v200, v59, v200                              // 000000013310: 0B91913B
	v_mul_f32_e32 v201, v59, v201                              // 000000013314: 0B93933B
	v_mul_f32_e32 v202, v59, v202                              // 000000013318: 0B95953B
	v_mul_f32_e32 v203, v59, v203                              // 00000001331C: 0B97973B
	v_mul_f32_e32 v204, v59, v204                              // 000000013320: 0B99993B
	v_mul_f32_e32 v205, v59, v205                              // 000000013324: 0B9B9B3B
	v_mul_f32_e32 v206, v59, v206                              // 000000013328: 0B9D9D3B
	v_mul_f32_e32 v207, v59, v207                              // 00000001332C: 0B9F9F3B
	v_add_f32_e32 v232, v232, v200                             // 000000013330: 03D191E8
	v_add_f32_e32 v233, v233, v201                             // 000000013334: 03D393E9
	v_add_f32_e32 v234, v234, v202                             // 000000013338: 03D595EA
	v_add_f32_e32 v235, v235, v203                             // 00000001333C: 03D797EB
	v_add_f32_e32 v236, v236, v204                             // 000000013340: 03D999EC
	v_add_f32_e32 v237, v237, v205                             // 000000013344: 03DB9BED
	v_add_f32_e32 v238, v238, v206                             // 000000013348: 03DD9DEE
	v_add_f32_e32 v239, v239, v207                             // 00000001334C: 03DF9FEF
	ds_write_b32 v11, v48 offset:16896                         // 000000013350: D81A4200 0000300B
	s_waitcnt lgkmcnt(0)                                       // 000000013358: BF8CC07F
	s_barrier                                                  // 00000001335C: BF8A0000
	ds_read_b32 v80, v10 offset:16896                          // 000000013360: D86C4200 5000000A
	ds_read_b32 v81, v10 offset:16960                          // 000000013368: D86C4240 5100000A
	ds_read_b32 v82, v10 offset:17024                          // 000000013370: D86C4280 5200000A
	ds_read_b32 v83, v10 offset:17088                          // 000000013378: D86C42C0 5300000A
	ds_read_b32 v84, v10 offset:17152                          // 000000013380: D86C4300 5400000A
	ds_read_b32 v85, v10 offset:17216                          // 000000013388: D86C4340 5500000A
	ds_read_b32 v86, v10 offset:17280                          // 000000013390: D86C4380 5600000A
	ds_read_b32 v87, v10 offset:17344                          // 000000013398: D86C43C0 5700000A
	ds_read_b32 v88, v10 offset:17408                          // 0000000133A0: D86C4400 5800000A
	ds_read_b32 v89, v10 offset:17472                          // 0000000133A8: D86C4440 5900000A
	ds_read_b32 v90, v10 offset:17536                          // 0000000133B0: D86C4480 5A00000A
	ds_read_b32 v91, v10 offset:17600                          // 0000000133B8: D86C44C0 5B00000A
	ds_read_b32 v92, v10 offset:17664                          // 0000000133C0: D86C4500 5C00000A
	ds_read_b32 v93, v10 offset:17728                          // 0000000133C8: D86C4540 5D00000A
	ds_read_b32 v94, v10 offset:17792                          // 0000000133D0: D86C4580 5E00000A
	ds_read_b32 v95, v10 offset:17856                          // 0000000133D8: D86C45C0 5F00000A
	s_waitcnt lgkmcnt(0)                                       // 0000000133E0: BF8CC07F
	v_mov_b32_e32 v48, 0                                       // 0000000133E4: 7E600280
	v_add_f32_e32 v48, v80, v48                                // 0000000133E8: 02606150
	v_add_f32_e32 v48, v81, v48                                // 0000000133EC: 02606151
	v_add_f32_e32 v48, v82, v48                                // 0000000133F0: 02606152
	v_add_f32_e32 v48, v83, v48                                // 0000000133F4: 02606153
	v_add_f32_e32 v48, v84, v48                                // 0000000133F8: 02606154
	v_add_f32_e32 v48, v85, v48                                // 0000000133FC: 02606155
	v_add_f32_e32 v48, v86, v48                                // 000000013400: 02606156
	v_add_f32_e32 v48, v87, v48                                // 000000013404: 02606157
	v_add_f32_e32 v48, v88, v48                                // 000000013408: 02606158
	v_add_f32_e32 v48, v89, v48                                // 00000001340C: 02606159
	v_add_f32_e32 v48, v90, v48                                // 000000013410: 0260615A
	v_add_f32_e32 v48, v91, v48                                // 000000013414: 0260615B
	v_add_f32_e32 v48, v92, v48                                // 000000013418: 0260615C
	v_add_f32_e32 v48, v93, v48                                // 00000001341C: 0260615D
	v_add_f32_e32 v48, v94, v48                                // 000000013420: 0260615E
	v_add_f32_e32 v48, v95, v48                                // 000000013424: 0260615F
	s_nop 1                                                    // 000000013428: BF800001
	v_rcp_f32_e32 v48, v48                                     // 00000001342C: 7E604530
	s_nop 1                                                    // 000000013430: BF800001
	v_mul_f32_e32 v232, v48, v232                              // 000000013434: 0BD1D130
	v_mul_f32_e32 v233, v48, v233                              // 000000013438: 0BD3D330
	v_mul_f32_e32 v234, v48, v234                              // 00000001343C: 0BD5D530
	v_mul_f32_e32 v235, v48, v235                              // 000000013440: 0BD7D730
	v_mul_f32_e32 v236, v48, v236                              // 000000013444: 0BD9D930
	v_mul_f32_e32 v237, v48, v237                              // 000000013448: 0BDBDB30
	v_mul_f32_e32 v238, v48, v238                              // 00000001344C: 0BDDDD30
	v_mul_f32_e32 v239, v48, v239                              // 000000013450: 0BDFDF30
	v_cmp_u_f32_e64 s[40:41], v232, v232                       // 000000013454: D0480028 0003D1E8
	v_add3_u32 v21, v232, v24, 1                               // 00000001345C: D1FF0015 020631E8
	v_cndmask_b32_e64 v41, v21, v23, s[40:41]                  // 000000013464: D1000029 00A22F15
	v_cmp_u_f32_e64 s[40:41], v233, v233                       // 00000001346C: D0480028 0003D3E9
	v_add3_u32 v21, v233, v24, 1                               // 000000013474: D1FF0015 020631E9
	v_cndmask_b32_e64 v42, v21, v23, s[40:41]                  // 00000001347C: D100002A 00A22F15
	v_perm_b32 v232, v42, v41, s52                             // 000000013484: D1ED00E8 00D2532A
	v_cmp_u_f32_e64 s[40:41], v234, v234                       // 00000001348C: D0480028 0003D5EA
	v_add3_u32 v21, v234, v24, 1                               // 000000013494: D1FF0015 020631EA
	v_cndmask_b32_e64 v41, v21, v23, s[40:41]                  // 00000001349C: D1000029 00A22F15
	v_cmp_u_f32_e64 s[40:41], v235, v235                       // 0000000134A4: D0480028 0003D7EB
	v_add3_u32 v21, v235, v24, 1                               // 0000000134AC: D1FF0015 020631EB
	v_cndmask_b32_e64 v42, v21, v23, s[40:41]                  // 0000000134B4: D100002A 00A22F15
	v_perm_b32 v233, v42, v41, s52                             // 0000000134BC: D1ED00E9 00D2532A
	v_cmp_u_f32_e64 s[40:41], v236, v236                       // 0000000134C4: D0480028 0003D9EC
	v_add3_u32 v21, v236, v24, 1                               // 0000000134CC: D1FF0015 020631EC
	v_cndmask_b32_e64 v41, v21, v23, s[40:41]                  // 0000000134D4: D1000029 00A22F15
	v_cmp_u_f32_e64 s[40:41], v237, v237                       // 0000000134DC: D0480028 0003DBED
	v_add3_u32 v21, v237, v24, 1                               // 0000000134E4: D1FF0015 020631ED
	v_cndmask_b32_e64 v42, v21, v23, s[40:41]                  // 0000000134EC: D100002A 00A22F15
	v_perm_b32 v234, v42, v41, s52                             // 0000000134F4: D1ED00EA 00D2532A
	v_cmp_u_f32_e64 s[40:41], v238, v238                       // 0000000134FC: D0480028 0003DDEE
	v_add3_u32 v21, v238, v24, 1                               // 000000013504: D1FF0015 020631EE
	v_cndmask_b32_e64 v41, v21, v23, s[40:41]                  // 00000001350C: D1000029 00A22F15
	v_cmp_u_f32_e64 s[40:41], v239, v239                       // 000000013514: D0480028 0003DFEF
	v_add3_u32 v21, v239, v24, 1                               // 00000001351C: D1FF0015 020631EF
	v_cndmask_b32_e64 v42, v21, v23, s[40:41]                  // 000000013524: D100002A 00A22F15
	v_perm_b32 v235, v42, v41, s52                             // 00000001352C: D1ED00EB 00D2532A
	s_nop 1                                                    // 000000013534: BF800001
	v_lshrrev_b32_e32 v41, 4, v0                               // 000000013538: 20520084
	v_mul_i32_i24_e32 v45, 34, v41                             // 00000001353C: 0C5A52A2
	v_and_b32_e32 v41, 15, v0                                  // 000000013540: 2652008F
	v_mul_i32_i24_e32 v42, 2, v41                              // 000000013544: 0C545282
	v_add_u32_e32 v45, v42, v45                                // 000000013548: 685A5B2A
	s_mul_i32 s60, s7, 0x88                                    // 00000001354C: 923CFF07 00000088
	v_add_u32_e32 v45, s60, v45                                // 000000013554: 685A5A3C
	v_lshlrev_b32_e32 v45, 2, v45                              // 000000013558: 245A5A82
	ds_write_b64 v45, v[232:233] offset:41472                  // 00000001355C: D89AA200 0000E82D
	ds_write_b64 v45, v[234:235] offset:43648                  // 000000013564: D89AAA80 0000EA2D
	v_lshrrev_b32_e32 v41, 1, v0                               // 00000001356C: 20520081
	v_mul_i32_i24_e32 v45, 34, v41                             // 000000013570: 0C5A52A2
	v_and_b32_e32 v42, 1, v0                                   // 000000013574: 26540081
	v_add_u32_e32 v45, v42, v45                                // 000000013578: 685A5B2A
	s_mul_i32 s60, s7, 2                                       // 00000001357C: 923C8207
	v_add_u32_e32 v45, s60, v45                                // 000000013580: 685A5A3C
	v_lshlrev_b32_e32 v45, 2, v45                              // 000000013584: 245A5A82
	s_waitcnt lgkmcnt(0)                                       // 000000013588: BF8CC07F
	s_barrier                                                  // 00000001358C: BF8A0000
	ds_read_b32 v232, v45 offset:41472                         // 000000013590: D86CA200 E800002D
	ds_read_b32 v233, v45 offset:41504                         // 000000013598: D86CA220 E900002D
	ds_read_b32 v234, v45 offset:41536                         // 0000000135A0: D86CA240 EA00002D
	ds_read_b32 v235, v45 offset:41568                         // 0000000135A8: D86CA260 EB00002D
	s_mul_i32 s60, s7, 0x100                                   // 0000000135B0: 923CFF07 00000100
	v_lshlrev_b32_e32 v41, 2, v0                               // 0000000135B8: 24520082
	v_add_u32_e64 v41, v41, s60                                // 0000000135BC: D1340029 00007929
	s_waitcnt lgkmcnt(0)                                       // 0000000135C4: BF8CC07F
	buffer_store_dword v232, v41, s[8:11], 0 offen             // 0000000135C8: E0701000 8002E829
	buffer_store_dword v233, v41, s[8:11], 0 offen offset:1024 // 0000000135D0: E0701400 8002E929
	s_add_u32 s8, s75, s8                                      // 0000000135D8: 8008084B
	s_addc_u32 s9, 0, s9                                       // 0000000135DC: 82090980
	buffer_store_dword v234, v41, s[8:11], 0 offen             // 0000000135E0: E0701000 8002EA29
	buffer_store_dword v235, v41, s[8:11], 0 offen offset:1024 // 0000000135E8: E0701400 8002EB29
	s_add_u32 s8, s75, s8                                      // 0000000135F0: 8008084B
	s_addc_u32 s9, 0, s9                                       // 0000000135F4: 82090980
	s_branch label_467A                                        // 0000000135F8: BF82017B

00000000000135fc <label_44FF>:
	v_mul_f32_e32 v224, v63, v224                              // 0000000135FC: 0BC1C13F
	v_mul_f32_e32 v225, v63, v225                              // 000000013600: 0BC3C33F
	v_mul_f32_e32 v226, v63, v226                              // 000000013604: 0BC5C53F
	v_mul_f32_e32 v227, v63, v227                              // 000000013608: 0BC7C73F
	v_mul_f32_e32 v228, v63, v228                              // 00000001360C: 0BC9C93F
	v_mul_f32_e32 v229, v63, v229                              // 000000013610: 0BCBCB3F
	v_mul_f32_e32 v230, v63, v230                              // 000000013614: 0BCDCD3F
	v_mul_f32_e32 v231, v63, v231                              // 000000013618: 0BCFCF3F
	v_mul_f32_e32 v192, v58, v192                              // 00000001361C: 0B81813A
	v_mul_f32_e32 v193, v58, v193                              // 000000013620: 0B83833A
	v_mul_f32_e32 v194, v58, v194                              // 000000013624: 0B85853A
	v_mul_f32_e32 v195, v58, v195                              // 000000013628: 0B87873A
	v_mul_f32_e32 v196, v58, v196                              // 00000001362C: 0B89893A
	v_mul_f32_e32 v197, v58, v197                              // 000000013630: 0B8B8B3A
	v_mul_f32_e32 v198, v58, v198                              // 000000013634: 0B8D8D3A
	v_mul_f32_e32 v199, v58, v199                              // 000000013638: 0B8F8F3A
	v_add_f32_e32 v224, v224, v192                             // 00000001363C: 03C181E0
	v_add_f32_e32 v225, v225, v193                             // 000000013640: 03C383E1
	v_add_f32_e32 v226, v226, v194                             // 000000013644: 03C585E2
	v_add_f32_e32 v227, v227, v195                             // 000000013648: 03C787E3
	v_add_f32_e32 v228, v228, v196                             // 00000001364C: 03C989E4
	v_add_f32_e32 v229, v229, v197                             // 000000013650: 03CB8BE5
	v_add_f32_e32 v230, v230, v198                             // 000000013654: 03CD8DE6
	v_add_f32_e32 v231, v231, v199                             // 000000013658: 03CF8FE7
	ds_write_b32 v11, v47 offset:16896                         // 00000001365C: D81A4200 00002F0B
	s_waitcnt lgkmcnt(0)                                       // 000000013664: BF8CC07F
	s_barrier                                                  // 000000013668: BF8A0000
	ds_read_b32 v80, v10 offset:16896                          // 00000001366C: D86C4200 5000000A
	ds_read_b32 v81, v10 offset:16960                          // 000000013674: D86C4240 5100000A
	ds_read_b32 v82, v10 offset:17024                          // 00000001367C: D86C4280 5200000A
	ds_read_b32 v83, v10 offset:17088                          // 000000013684: D86C42C0 5300000A
	ds_read_b32 v84, v10 offset:17152                          // 00000001368C: D86C4300 5400000A
	ds_read_b32 v85, v10 offset:17216                          // 000000013694: D86C4340 5500000A
	ds_read_b32 v86, v10 offset:17280                          // 00000001369C: D86C4380 5600000A
	ds_read_b32 v87, v10 offset:17344                          // 0000000136A4: D86C43C0 5700000A
	ds_read_b32 v88, v10 offset:17408                          // 0000000136AC: D86C4400 5800000A
	ds_read_b32 v89, v10 offset:17472                          // 0000000136B4: D86C4440 5900000A
	ds_read_b32 v90, v10 offset:17536                          // 0000000136BC: D86C4480 5A00000A
	ds_read_b32 v91, v10 offset:17600                          // 0000000136C4: D86C44C0 5B00000A
	ds_read_b32 v92, v10 offset:17664                          // 0000000136CC: D86C4500 5C00000A
	ds_read_b32 v93, v10 offset:17728                          // 0000000136D4: D86C4540 5D00000A
	ds_read_b32 v94, v10 offset:17792                          // 0000000136DC: D86C4580 5E00000A
	ds_read_b32 v95, v10 offset:17856                          // 0000000136E4: D86C45C0 5F00000A
	s_waitcnt lgkmcnt(0)                                       // 0000000136EC: BF8CC07F
	v_mov_b32_e32 v47, 0                                       // 0000000136F0: 7E5E0280
	v_add_f32_e32 v47, v80, v47                                // 0000000136F4: 025E5F50
	v_add_f32_e32 v47, v81, v47                                // 0000000136F8: 025E5F51
	v_add_f32_e32 v47, v82, v47                                // 0000000136FC: 025E5F52
	v_add_f32_e32 v47, v83, v47                                // 000000013700: 025E5F53
	v_add_f32_e32 v47, v84, v47                                // 000000013704: 025E5F54
	v_add_f32_e32 v47, v85, v47                                // 000000013708: 025E5F55
	v_add_f32_e32 v47, v86, v47                                // 00000001370C: 025E5F56
	v_add_f32_e32 v47, v87, v47                                // 000000013710: 025E5F57
	v_add_f32_e32 v47, v88, v47                                // 000000013714: 025E5F58
	v_add_f32_e32 v47, v89, v47                                // 000000013718: 025E5F59
	v_add_f32_e32 v47, v90, v47                                // 00000001371C: 025E5F5A
	v_add_f32_e32 v47, v91, v47                                // 000000013720: 025E5F5B
	v_add_f32_e32 v47, v92, v47                                // 000000013724: 025E5F5C
	v_add_f32_e32 v47, v93, v47                                // 000000013728: 025E5F5D
	v_add_f32_e32 v47, v94, v47                                // 00000001372C: 025E5F5E
	v_add_f32_e32 v47, v95, v47                                // 000000013730: 025E5F5F
	s_nop 1                                                    // 000000013734: BF800001
	v_rcp_f32_e32 v47, v47                                     // 000000013738: 7E5E452F
	s_nop 1                                                    // 00000001373C: BF800001
	v_mul_f32_e32 v224, v47, v224                              // 000000013740: 0BC1C12F
	v_mul_f32_e32 v225, v47, v225                              // 000000013744: 0BC3C32F
	v_mul_f32_e32 v226, v47, v226                              // 000000013748: 0BC5C52F
	v_mul_f32_e32 v227, v47, v227                              // 00000001374C: 0BC7C72F
	v_mul_f32_e32 v228, v47, v228                              // 000000013750: 0BC9C92F
	v_mul_f32_e32 v229, v47, v229                              // 000000013754: 0BCBCB2F
	v_mul_f32_e32 v230, v47, v230                              // 000000013758: 0BCDCD2F
	v_mul_f32_e32 v231, v47, v231                              // 00000001375C: 0BCFCF2F
	v_cmp_u_f32_e64 s[40:41], v224, v224                       // 000000013760: D0480028 0003C1E0
	v_add3_u32 v21, v224, v24, 1                               // 000000013768: D1FF0015 020631E0
	v_cndmask_b32_e64 v41, v21, v23, s[40:41]                  // 000000013770: D1000029 00A22F15
	v_cmp_u_f32_e64 s[40:41], v225, v225                       // 000000013778: D0480028 0003C3E1
	v_add3_u32 v21, v225, v24, 1                               // 000000013780: D1FF0015 020631E1
	v_cndmask_b32_e64 v42, v21, v23, s[40:41]                  // 000000013788: D100002A 00A22F15
	v_perm_b32 v224, v42, v41, s52                             // 000000013790: D1ED00E0 00D2532A
	v_cmp_u_f32_e64 s[40:41], v226, v226                       // 000000013798: D0480028 0003C5E2
	v_add3_u32 v21, v226, v24, 1                               // 0000000137A0: D1FF0015 020631E2
	v_cndmask_b32_e64 v41, v21, v23, s[40:41]                  // 0000000137A8: D1000029 00A22F15
	v_cmp_u_f32_e64 s[40:41], v227, v227                       // 0000000137B0: D0480028 0003C7E3
	v_add3_u32 v21, v227, v24, 1                               // 0000000137B8: D1FF0015 020631E3
	v_cndmask_b32_e64 v42, v21, v23, s[40:41]                  // 0000000137C0: D100002A 00A22F15
	v_perm_b32 v225, v42, v41, s52                             // 0000000137C8: D1ED00E1 00D2532A
	v_cmp_u_f32_e64 s[40:41], v228, v228                       // 0000000137D0: D0480028 0003C9E4
	v_add3_u32 v21, v228, v24, 1                               // 0000000137D8: D1FF0015 020631E4
	v_cndmask_b32_e64 v41, v21, v23, s[40:41]                  // 0000000137E0: D1000029 00A22F15
	v_cmp_u_f32_e64 s[40:41], v229, v229                       // 0000000137E8: D0480028 0003CBE5
	v_add3_u32 v21, v229, v24, 1                               // 0000000137F0: D1FF0015 020631E5
	v_cndmask_b32_e64 v42, v21, v23, s[40:41]                  // 0000000137F8: D100002A 00A22F15
	v_perm_b32 v226, v42, v41, s52                             // 000000013800: D1ED00E2 00D2532A
	v_cmp_u_f32_e64 s[40:41], v230, v230                       // 000000013808: D0480028 0003CDE6
	v_add3_u32 v21, v230, v24, 1                               // 000000013810: D1FF0015 020631E6
	v_cndmask_b32_e64 v41, v21, v23, s[40:41]                  // 000000013818: D1000029 00A22F15
	v_cmp_u_f32_e64 s[40:41], v231, v231                       // 000000013820: D0480028 0003CFE7
	v_add3_u32 v21, v231, v24, 1                               // 000000013828: D1FF0015 020631E7
	v_cndmask_b32_e64 v42, v21, v23, s[40:41]                  // 000000013830: D100002A 00A22F15
	v_perm_b32 v227, v42, v41, s52                             // 000000013838: D1ED00E3 00D2532A
	s_nop 1                                                    // 000000013840: BF800001
	v_lshrrev_b32_e32 v41, 4, v0                               // 000000013844: 20520084
	v_mul_i32_i24_e32 v45, 34, v41                             // 000000013848: 0C5A52A2
	v_and_b32_e32 v41, 15, v0                                  // 00000001384C: 2652008F
	v_mul_i32_i24_e32 v42, 2, v41                              // 000000013850: 0C545282
	v_add_u32_e32 v45, v42, v45                                // 000000013854: 685A5B2A
	s_mul_i32 s60, s7, 0x88                                    // 000000013858: 923CFF07 00000088
	v_add_u32_e32 v45, s60, v45                                // 000000013860: 685A5A3C
	v_lshlrev_b32_e32 v45, 2, v45                              // 000000013864: 245A5A82
	ds_write_b64 v45, v[224:225] offset:41472                  // 000000013868: D89AA200 0000E02D
	ds_write_b64 v45, v[226:227] offset:43648                  // 000000013870: D89AAA80 0000E22D
	v_lshrrev_b32_e32 v41, 1, v0                               // 000000013878: 20520081
	v_mul_i32_i24_e32 v45, 34, v41                             // 00000001387C: 0C5A52A2
	v_and_b32_e32 v42, 1, v0                                   // 000000013880: 26540081
	v_add_u32_e32 v45, v42, v45                                // 000000013884: 685A5B2A
	s_mul_i32 s60, s7, 2                                       // 000000013888: 923C8207
	v_add_u32_e32 v45, s60, v45                                // 00000001388C: 685A5A3C
	v_lshlrev_b32_e32 v45, 2, v45                              // 000000013890: 245A5A82
	s_waitcnt lgkmcnt(0)                                       // 000000013894: BF8CC07F
	s_barrier                                                  // 000000013898: BF8A0000
	ds_read_b32 v224, v45 offset:41472                         // 00000001389C: D86CA200 E000002D
	ds_read_b32 v225, v45 offset:41504                         // 0000000138A4: D86CA220 E100002D
	ds_read_b32 v226, v45 offset:41536                         // 0000000138AC: D86CA240 E200002D
	ds_read_b32 v227, v45 offset:41568                         // 0000000138B4: D86CA260 E300002D
	s_mul_i32 s60, s7, 0x100                                   // 0000000138BC: 923CFF07 00000100
	v_lshlrev_b32_e32 v41, 2, v0                               // 0000000138C4: 24520082
	v_add_u32_e64 v41, v41, s60                                // 0000000138C8: D1340029 00007929
	s_waitcnt lgkmcnt(0)                                       // 0000000138D0: BF8CC07F
	buffer_store_dword v224, v41, s[8:11], 0 offen             // 0000000138D4: E0701000 8002E029
	buffer_store_dword v225, v41, s[8:11], 0 offen offset:1024 // 0000000138DC: E0701400 8002E129
	s_add_u32 s8, s75, s8                                      // 0000000138E4: 8008084B
	s_addc_u32 s9, 0, s9                                       // 0000000138E8: 82090980
	buffer_store_dword v226, v41, s[8:11], 0 offen             // 0000000138EC: E0701000 8002E229
	buffer_store_dword v227, v41, s[8:11], 0 offen offset:1024 // 0000000138F4: E0701400 8002E329
	s_add_u32 s8, s75, s8                                      // 0000000138FC: 8008084B
	s_addc_u32 s9, 0, s9                                       // 000000013900: 82090980
	v_mul_f32_e32 v232, v64, v232                              // 000000013904: 0BD1D140
	v_mul_f32_e32 v233, v64, v233                              // 000000013908: 0BD3D340
	v_mul_f32_e32 v234, v64, v234                              // 00000001390C: 0BD5D540
	v_mul_f32_e32 v235, v64, v235                              // 000000013910: 0BD7D740
	v_mul_f32_e32 v236, v64, v236                              // 000000013914: 0BD9D940
	v_mul_f32_e32 v237, v64, v237                              // 000000013918: 0BDBDB40
	v_mul_f32_e32 v238, v64, v238                              // 00000001391C: 0BDDDD40
	v_mul_f32_e32 v239, v64, v239                              // 000000013920: 0BDFDF40
	v_mul_f32_e32 v200, v59, v200                              // 000000013924: 0B91913B
	v_mul_f32_e32 v201, v59, v201                              // 000000013928: 0B93933B
	v_mul_f32_e32 v202, v59, v202                              // 00000001392C: 0B95953B
	v_mul_f32_e32 v203, v59, v203                              // 000000013930: 0B97973B
	v_mul_f32_e32 v204, v59, v204                              // 000000013934: 0B99993B
	v_mul_f32_e32 v205, v59, v205                              // 000000013938: 0B9B9B3B
	v_mul_f32_e32 v206, v59, v206                              // 00000001393C: 0B9D9D3B
	v_mul_f32_e32 v207, v59, v207                              // 000000013940: 0B9F9F3B
	v_add_f32_e32 v232, v232, v200                             // 000000013944: 03D191E8
	v_add_f32_e32 v233, v233, v201                             // 000000013948: 03D393E9
	v_add_f32_e32 v234, v234, v202                             // 00000001394C: 03D595EA
	v_add_f32_e32 v235, v235, v203                             // 000000013950: 03D797EB
	v_add_f32_e32 v236, v236, v204                             // 000000013954: 03D999EC
	v_add_f32_e32 v237, v237, v205                             // 000000013958: 03DB9BED
	v_add_f32_e32 v238, v238, v206                             // 00000001395C: 03DD9DEE
	v_add_f32_e32 v239, v239, v207                             // 000000013960: 03DF9FEF
	ds_write_b32 v11, v48 offset:16896                         // 000000013964: D81A4200 0000300B
	s_waitcnt lgkmcnt(0)                                       // 00000001396C: BF8CC07F
	s_barrier                                                  // 000000013970: BF8A0000
	ds_read_b32 v80, v10 offset:16896                          // 000000013974: D86C4200 5000000A
	ds_read_b32 v81, v10 offset:16960                          // 00000001397C: D86C4240 5100000A
	ds_read_b32 v82, v10 offset:17024                          // 000000013984: D86C4280 5200000A
	ds_read_b32 v83, v10 offset:17088                          // 00000001398C: D86C42C0 5300000A
	ds_read_b32 v84, v10 offset:17152                          // 000000013994: D86C4300 5400000A
	ds_read_b32 v85, v10 offset:17216                          // 00000001399C: D86C4340 5500000A
	ds_read_b32 v86, v10 offset:17280                          // 0000000139A4: D86C4380 5600000A
	ds_read_b32 v87, v10 offset:17344                          // 0000000139AC: D86C43C0 5700000A
	ds_read_b32 v88, v10 offset:17408                          // 0000000139B4: D86C4400 5800000A
	ds_read_b32 v89, v10 offset:17472                          // 0000000139BC: D86C4440 5900000A
	ds_read_b32 v90, v10 offset:17536                          // 0000000139C4: D86C4480 5A00000A
	ds_read_b32 v91, v10 offset:17600                          // 0000000139CC: D86C44C0 5B00000A
	ds_read_b32 v92, v10 offset:17664                          // 0000000139D4: D86C4500 5C00000A
	ds_read_b32 v93, v10 offset:17728                          // 0000000139DC: D86C4540 5D00000A
	ds_read_b32 v94, v10 offset:17792                          // 0000000139E4: D86C4580 5E00000A
	ds_read_b32 v95, v10 offset:17856                          // 0000000139EC: D86C45C0 5F00000A
	s_waitcnt lgkmcnt(0)                                       // 0000000139F4: BF8CC07F
	v_mov_b32_e32 v48, 0                                       // 0000000139F8: 7E600280
	v_add_f32_e32 v48, v80, v48                                // 0000000139FC: 02606150
	v_add_f32_e32 v48, v81, v48                                // 000000013A00: 02606151
	v_add_f32_e32 v48, v82, v48                                // 000000013A04: 02606152
	v_add_f32_e32 v48, v83, v48                                // 000000013A08: 02606153
	v_add_f32_e32 v48, v84, v48                                // 000000013A0C: 02606154
	v_add_f32_e32 v48, v85, v48                                // 000000013A10: 02606155
	v_add_f32_e32 v48, v86, v48                                // 000000013A14: 02606156
	v_add_f32_e32 v48, v87, v48                                // 000000013A18: 02606157
	v_add_f32_e32 v48, v88, v48                                // 000000013A1C: 02606158
	v_add_f32_e32 v48, v89, v48                                // 000000013A20: 02606159
	v_add_f32_e32 v48, v90, v48                                // 000000013A24: 0260615A
	v_add_f32_e32 v48, v91, v48                                // 000000013A28: 0260615B
	v_add_f32_e32 v48, v92, v48                                // 000000013A2C: 0260615C
	v_add_f32_e32 v48, v93, v48                                // 000000013A30: 0260615D
	v_add_f32_e32 v48, v94, v48                                // 000000013A34: 0260615E
	v_add_f32_e32 v48, v95, v48                                // 000000013A38: 0260615F
	s_nop 1                                                    // 000000013A3C: BF800001
	v_rcp_f32_e32 v48, v48                                     // 000000013A40: 7E604530
	s_nop 1                                                    // 000000013A44: BF800001
	v_mul_f32_e32 v232, v48, v232                              // 000000013A48: 0BD1D130
	v_mul_f32_e32 v233, v48, v233                              // 000000013A4C: 0BD3D330
	v_mul_f32_e32 v234, v48, v234                              // 000000013A50: 0BD5D530
	v_mul_f32_e32 v235, v48, v235                              // 000000013A54: 0BD7D730
	v_mul_f32_e32 v236, v48, v236                              // 000000013A58: 0BD9D930
	v_mul_f32_e32 v237, v48, v237                              // 000000013A5C: 0BDBDB30
	v_mul_f32_e32 v238, v48, v238                              // 000000013A60: 0BDDDD30
	v_mul_f32_e32 v239, v48, v239                              // 000000013A64: 0BDFDF30
	v_cmp_u_f32_e64 s[40:41], v232, v232                       // 000000013A68: D0480028 0003D1E8
	v_add3_u32 v21, v232, v24, 1                               // 000000013A70: D1FF0015 020631E8
	v_cndmask_b32_e64 v41, v21, v23, s[40:41]                  // 000000013A78: D1000029 00A22F15
	v_cmp_u_f32_e64 s[40:41], v233, v233                       // 000000013A80: D0480028 0003D3E9
	v_add3_u32 v21, v233, v24, 1                               // 000000013A88: D1FF0015 020631E9
	v_cndmask_b32_e64 v42, v21, v23, s[40:41]                  // 000000013A90: D100002A 00A22F15
	v_perm_b32 v232, v42, v41, s52                             // 000000013A98: D1ED00E8 00D2532A
	v_cmp_u_f32_e64 s[40:41], v234, v234                       // 000000013AA0: D0480028 0003D5EA
	v_add3_u32 v21, v234, v24, 1                               // 000000013AA8: D1FF0015 020631EA
	v_cndmask_b32_e64 v41, v21, v23, s[40:41]                  // 000000013AB0: D1000029 00A22F15
	v_cmp_u_f32_e64 s[40:41], v235, v235                       // 000000013AB8: D0480028 0003D7EB
	v_add3_u32 v21, v235, v24, 1                               // 000000013AC0: D1FF0015 020631EB
	v_cndmask_b32_e64 v42, v21, v23, s[40:41]                  // 000000013AC8: D100002A 00A22F15
	v_perm_b32 v233, v42, v41, s52                             // 000000013AD0: D1ED00E9 00D2532A
	v_cmp_u_f32_e64 s[40:41], v236, v236                       // 000000013AD8: D0480028 0003D9EC
	v_add3_u32 v21, v236, v24, 1                               // 000000013AE0: D1FF0015 020631EC
	v_cndmask_b32_e64 v41, v21, v23, s[40:41]                  // 000000013AE8: D1000029 00A22F15
	v_cmp_u_f32_e64 s[40:41], v237, v237                       // 000000013AF0: D0480028 0003DBED
	v_add3_u32 v21, v237, v24, 1                               // 000000013AF8: D1FF0015 020631ED
	v_cndmask_b32_e64 v42, v21, v23, s[40:41]                  // 000000013B00: D100002A 00A22F15
	v_perm_b32 v234, v42, v41, s52                             // 000000013B08: D1ED00EA 00D2532A
	v_cmp_u_f32_e64 s[40:41], v238, v238                       // 000000013B10: D0480028 0003DDEE
	v_add3_u32 v21, v238, v24, 1                               // 000000013B18: D1FF0015 020631EE
	v_cndmask_b32_e64 v41, v21, v23, s[40:41]                  // 000000013B20: D1000029 00A22F15
	v_cmp_u_f32_e64 s[40:41], v239, v239                       // 000000013B28: D0480028 0003DFEF
	v_add3_u32 v21, v239, v24, 1                               // 000000013B30: D1FF0015 020631EF
	v_cndmask_b32_e64 v42, v21, v23, s[40:41]                  // 000000013B38: D100002A 00A22F15
	v_perm_b32 v235, v42, v41, s52                             // 000000013B40: D1ED00EB 00D2532A
	s_nop 1                                                    // 000000013B48: BF800001
	v_lshrrev_b32_e32 v41, 4, v0                               // 000000013B4C: 20520084
	v_mul_i32_i24_e32 v45, 34, v41                             // 000000013B50: 0C5A52A2
	v_and_b32_e32 v41, 15, v0                                  // 000000013B54: 2652008F
	v_mul_i32_i24_e32 v42, 2, v41                              // 000000013B58: 0C545282
	v_add_u32_e32 v45, v42, v45                                // 000000013B5C: 685A5B2A
	s_mul_i32 s60, s7, 0x88                                    // 000000013B60: 923CFF07 00000088
	v_add_u32_e32 v45, s60, v45                                // 000000013B68: 685A5A3C
	v_lshlrev_b32_e32 v45, 2, v45                              // 000000013B6C: 245A5A82
	ds_write_b64 v45, v[232:233] offset:41472                  // 000000013B70: D89AA200 0000E82D
	ds_write_b64 v45, v[234:235] offset:43648                  // 000000013B78: D89AAA80 0000EA2D
	v_lshrrev_b32_e32 v41, 1, v0                               // 000000013B80: 20520081
	v_mul_i32_i24_e32 v45, 34, v41                             // 000000013B84: 0C5A52A2
	v_and_b32_e32 v42, 1, v0                                   // 000000013B88: 26540081
	v_add_u32_e32 v45, v42, v45                                // 000000013B8C: 685A5B2A
	s_mul_i32 s60, s7, 2                                       // 000000013B90: 923C8207
	v_add_u32_e32 v45, s60, v45                                // 000000013B94: 685A5A3C
	v_lshlrev_b32_e32 v45, 2, v45                              // 000000013B98: 245A5A82
	s_waitcnt lgkmcnt(0)                                       // 000000013B9C: BF8CC07F
	s_barrier                                                  // 000000013BA0: BF8A0000
	ds_read_b32 v232, v45 offset:41472                         // 000000013BA4: D86CA200 E800002D
	ds_read_b32 v233, v45 offset:41504                         // 000000013BAC: D86CA220 E900002D
	s_mul_i32 s60, s7, 0x100                                   // 000000013BB4: 923CFF07 00000100
	v_lshlrev_b32_e32 v41, 2, v0                               // 000000013BBC: 24520082
	v_add_u32_e64 v41, v41, s60                                // 000000013BC0: D1340029 00007929
	s_waitcnt lgkmcnt(0)                                       // 000000013BC8: BF8CC07F
	buffer_store_dword v232, v41, s[8:11], 0 offen             // 000000013BCC: E0701000 8002E829
	buffer_store_dword v233, v41, s[8:11], 0 offen offset:1024 // 000000013BD4: E0701400 8002E929
	s_add_u32 s8, s75, s8                                      // 000000013BDC: 8008084B
	s_addc_u32 s9, 0, s9                                       // 000000013BE0: 82090980
	s_branch label_467A                                        // 000000013BE4: BF820000

0000000000013be8 <label_467A>:
	s_waitcnt vmcnt(0) expcnt(0) lgkmcnt(0)                    // 000000013BE8: BF8C0000
	s_endpgm                                                   // 000000013BEC: BF810000
